;; amdgpu-corpus repo=UoB-HPC/miniBUDE kind=compiled arch=gfx942 opt=O3
	.text
	.amdgcn_target "amdgcn-amd-amdhsa--gfx942"
	.amdhsa_code_object_version 6
	.section	.text._ZL11fasten_mainILm1EEviiPK4AtomS2_PKfS4_S4_S4_S4_S4_PfPK8FFParamsi,"axG",@progbits,_ZL11fasten_mainILm1EEviiPK4AtomS2_PKfS4_S4_S4_S4_S4_PfPK8FFParamsi,comdat
	.globl	_ZL11fasten_mainILm1EEviiPK4AtomS2_PKfS4_S4_S4_S4_S4_PfPK8FFParamsi ; -- Begin function _ZL11fasten_mainILm1EEviiPK4AtomS2_PKfS4_S4_S4_S4_S4_PfPK8FFParamsi
	.p2align	8
	.type	_ZL11fasten_mainILm1EEviiPK4AtomS2_PKfS4_S4_S4_S4_S4_PfPK8FFParamsi,@function
_ZL11fasten_mainILm1EEviiPK4AtomS2_PKfS4_S4_S4_S4_S4_PfPK8FFParamsi: ; @_ZL11fasten_mainILm1EEviiPK4AtomS2_PKfS4_S4_S4_S4_S4_PfPK8FFParamsi
; %bb.0:
	s_load_dwordx16 s[36:51], s[0:1], 0x8
	s_load_dword s3, s[0:1], 0x6c
	s_load_dword s4, s[0:1], 0x58
                                        ; implicit-def: $vgpr5
                                        ; implicit-def: $vgpr6
	s_waitcnt lgkmcnt(0)
	v_mov_b32_e32 v2, s40
	s_and_b32 s3, s3, 0xffff
	s_mul_i32 s2, s2, s3
	v_add_u32_e32 v4, s2, v0
	s_add_i32 s2, s4, -1
	v_mov_b32_e32 v0, s2
	v_cmp_gt_i32_e64 s[2:3], s4, v4
	v_mov_b32_e32 v3, s41
	s_brev_b32 s4, 18
	v_cndmask_b32_e64 v0, v0, v4, s[2:3]
	v_ashrrev_i32_e32 v1, 31, v0
	v_lshl_add_u64 v[2:3], v[0:1], 2, v[2:3]
	global_load_dword v2, v[2:3], off
	s_waitcnt vmcnt(0)
	v_and_b32_e32 v3, 0x7fffffff, v2
	v_cmp_nlt_f32_e64 s[10:11], |v2|, s4
	v_lshrrev_b32_e32 v9, 23, v3
	s_and_saveexec_b64 s[4:5], s[10:11]
	s_xor_b64 s[12:13], exec, s[4:5]
	s_cbranch_execz .LBB0_2
; %bb.1:
	v_add_u32_e32 v5, 0xffffff88, v9
	v_not_b32_e32 v6, 63
	v_cmp_lt_u32_e32 vcc, 63, v5
	s_mov_b32 s8, 0xfe5163ab
	v_mov_b32_e32 v7, 0
	v_cndmask_b32_e32 v6, 0, v6, vcc
	v_add_u32_e32 v5, v6, v5
	v_not_b32_e32 v6, 31
	v_cmp_lt_u32_e64 s[4:5], 31, v5
	s_nop 1
	v_cndmask_b32_e64 v8, 0, v6, s[4:5]
	v_add_u32_e32 v5, v8, v5
	v_cmp_lt_u32_e64 s[6:7], 31, v5
	s_nop 1
	v_cndmask_b32_e64 v6, 0, v6, s[6:7]
	v_add_u32_e32 v5, v6, v5
	v_and_b32_e32 v6, 0x7fffff, v3
	v_or_b32_e32 v8, 0x800000, v6
	v_mad_u64_u32 v[10:11], s[8:9], v8, s8, 0
	v_mov_b32_e32 v6, v11
	s_mov_b32 s8, 0x3c439041
	v_mad_u64_u32 v[12:13], s[8:9], v8, s8, v[6:7]
	v_mov_b32_e32 v6, v13
	s_mov_b32 s8, 0xdb629599
	;; [unrolled: 3-line block ×6, first 2 shown]
	v_mad_u64_u32 v[6:7], s[8:9], v8, s8, v[6:7]
	v_cndmask_b32_e32 v11, v20, v16, vcc
	v_cndmask_b32_e32 v6, v6, v18, vcc
	;; [unrolled: 1-line block ×3, first 2 shown]
	v_cndmask_b32_e64 v8, v6, v11, s[4:5]
	v_cndmask_b32_e64 v6, v7, v6, s[4:5]
	v_cndmask_b32_e32 v7, v18, v14, vcc
	v_cndmask_b32_e64 v11, v11, v7, s[4:5]
	v_cndmask_b32_e64 v6, v6, v8, s[6:7]
	;; [unrolled: 1-line block ×3, first 2 shown]
	v_sub_u32_e32 v13, 32, v5
	v_alignbit_b32 v15, v6, v8, v13
	v_cmp_eq_u32_e64 s[8:9], 0, v5
	v_cndmask_b32_e32 v10, v14, v10, vcc
	s_nop 0
	v_cndmask_b32_e64 v5, v15, v6, s[8:9]
	v_cndmask_b32_e32 v6, v16, v12, vcc
	v_cndmask_b32_e64 v7, v7, v6, s[4:5]
	v_cndmask_b32_e64 v11, v11, v7, s[6:7]
	v_alignbit_b32 v12, v8, v11, v13
	v_cndmask_b32_e64 v8, v12, v8, s[8:9]
	v_bfe_u32 v16, v5, 29, 1
	v_alignbit_b32 v12, v5, v8, 30
	v_sub_u32_e32 v17, 0, v16
	v_cndmask_b32_e64 v6, v6, v10, s[4:5]
	v_xor_b32_e32 v18, v12, v17
	v_cndmask_b32_e64 v6, v7, v6, s[6:7]
	v_alignbit_b32 v7, v11, v6, v13
	v_ffbh_u32_e32 v10, v18
	v_cndmask_b32_e64 v7, v7, v11, s[8:9]
	v_add_u32_e32 v10, 1, v10
	v_cmp_ne_u32_e32 vcc, v12, v17
	v_alignbit_b32 v8, v8, v7, 30
	v_alignbit_b32 v6, v7, v6, 30
	v_cndmask_b32_e32 v10, 33, v10, vcc
	v_xor_b32_e32 v8, v8, v17
	v_sub_u32_e32 v11, 32, v10
	v_xor_b32_e32 v6, v6, v17
	v_alignbit_b32 v12, v18, v8, v11
	v_alignbit_b32 v6, v8, v6, v11
	;; [unrolled: 1-line block ×3, first 2 shown]
	v_ffbh_u32_e32 v8, v7
	v_min_u32_e32 v8, 32, v8
	v_lshrrev_b32_e32 v15, 29, v5
	v_sub_u32_e32 v11, 31, v8
	v_alignbit_b32 v6, v7, v6, v11
	v_lshlrev_b32_e32 v7, 31, v15
	v_or_b32_e32 v11, 0x33800000, v7
	v_add_lshl_u32 v8, v8, v10, 23
	v_lshrrev_b32_e32 v6, 9, v6
	v_sub_u32_e32 v8, v11, v8
	v_or_b32_e32 v6, v8, v6
	v_alignbit_b32 v8, v10, v12, 9
	v_or_b32_e32 v7, v8, v7
	v_xor_b32_e32 v7, 1.0, v7
	s_mov_b32 s4, 0x3fc90fda
	v_mul_f32_e32 v8, 0x3fc90fda, v7
	v_fma_f32 v10, v7, s4, -v8
	v_fmamk_f32 v7, v7, 0x33a22168, v10
	v_fmac_f32_e32 v7, 0x3fc90fda, v6
	v_lshrrev_b32_e32 v5, 30, v5
	v_add_f32_e32 v6, v8, v7
	v_add_u32_e32 v5, v16, v5
	s_andn2_saveexec_b64 s[4:5], s[12:13]
	s_branch .LBB0_3
.LBB0_2:
	s_andn2_saveexec_b64 s[4:5], s[12:13]
.LBB0_3:
	s_mov_b32 s6, 0x3f22f983
	v_mul_f32_e64 v5, |v2|, s6
	v_rndne_f32_e32 v6, v5
	s_mov_b32 s6, 0xbfc90fda
	v_cvt_i32_f32_e32 v5, v6
	v_fma_f32 v7, v6, s6, |v2|
	v_fmamk_f32 v7, v6, 0xb3a22168, v7
	v_fmamk_f32 v6, v6, 0xa7c234c4, v7
; %bb.4:
	s_or_b64 exec, exec, s[4:5]
                                        ; implicit-def: $vgpr7
                                        ; implicit-def: $vgpr8
	s_and_saveexec_b64 s[4:5], s[10:11]
	s_xor_b64 s[10:11], exec, s[4:5]
	s_cbranch_execz .LBB0_6
; %bb.5:
	v_add_u32_e32 v7, 0xffffff88, v9
	v_not_b32_e32 v8, 63
	v_cmp_lt_u32_e32 vcc, 63, v7
	s_mov_b32 s8, 0xfe5163ab
	v_mov_b32_e32 v9, 0
	v_cndmask_b32_e32 v8, 0, v8, vcc
	v_add_u32_e32 v7, v8, v7
	v_not_b32_e32 v8, 31
	v_cmp_lt_u32_e64 s[4:5], 31, v7
	s_nop 1
	v_cndmask_b32_e64 v10, 0, v8, s[4:5]
	v_add_u32_e32 v7, v10, v7
	v_cmp_lt_u32_e64 s[6:7], 31, v7
	s_nop 1
	v_cndmask_b32_e64 v8, 0, v8, s[6:7]
	v_add_u32_e32 v7, v8, v7
	v_and_b32_e32 v8, 0x7fffff, v3
	v_or_b32_e32 v22, 0x800000, v8
	v_mad_u64_u32 v[10:11], s[8:9], v22, s8, 0
	v_mov_b32_e32 v8, v11
	s_mov_b32 s8, 0x3c439041
	v_mad_u64_u32 v[12:13], s[8:9], v22, s8, v[8:9]
	v_mov_b32_e32 v8, v13
	s_mov_b32 s8, 0xdb629599
	;; [unrolled: 3-line block ×6, first 2 shown]
	v_mad_u64_u32 v[8:9], s[8:9], v22, s8, v[8:9]
	v_cndmask_b32_e32 v11, v20, v16, vcc
	v_cndmask_b32_e32 v8, v8, v18, vcc
	v_cndmask_b32_e32 v9, v9, v20, vcc
	v_cndmask_b32_e64 v13, v8, v11, s[4:5]
	v_cndmask_b32_e64 v8, v9, v8, s[4:5]
	v_cndmask_b32_e32 v9, v18, v14, vcc
	v_cndmask_b32_e64 v11, v11, v9, s[4:5]
	v_cndmask_b32_e64 v8, v8, v13, s[6:7]
	;; [unrolled: 1-line block ×3, first 2 shown]
	v_sub_u32_e32 v15, 32, v7
	v_alignbit_b32 v17, v8, v13, v15
	v_cmp_eq_u32_e64 s[8:9], 0, v7
	v_cndmask_b32_e32 v10, v14, v10, vcc
	s_nop 0
	v_cndmask_b32_e64 v7, v17, v8, s[8:9]
	v_cndmask_b32_e32 v8, v16, v12, vcc
	v_cndmask_b32_e64 v9, v9, v8, s[4:5]
	v_cndmask_b32_e64 v11, v11, v9, s[6:7]
	v_alignbit_b32 v12, v13, v11, v15
	v_cndmask_b32_e64 v12, v12, v13, s[8:9]
	v_bfe_u32 v17, v7, 29, 1
	v_cndmask_b32_e64 v8, v8, v10, s[4:5]
	v_alignbit_b32 v13, v7, v12, 30
	v_sub_u32_e32 v18, 0, v17
	v_cndmask_b32_e64 v8, v9, v8, s[6:7]
	v_xor_b32_e32 v19, v13, v18
	v_alignbit_b32 v9, v11, v8, v15
	v_cndmask_b32_e64 v9, v9, v11, s[8:9]
	v_ffbh_u32_e32 v11, v19
	v_add_u32_e32 v11, 1, v11
	v_cmp_ne_u32_e32 vcc, v13, v18
	v_alignbit_b32 v10, v12, v9, 30
	v_alignbit_b32 v8, v9, v8, 30
	v_cndmask_b32_e32 v11, 33, v11, vcc
	v_xor_b32_e32 v10, v10, v18
	v_sub_u32_e32 v12, 32, v11
	v_xor_b32_e32 v8, v8, v18
	v_alignbit_b32 v13, v19, v10, v12
	v_alignbit_b32 v8, v10, v8, v12
	;; [unrolled: 1-line block ×3, first 2 shown]
	v_ffbh_u32_e32 v10, v9
	v_min_u32_e32 v10, 32, v10
	v_lshrrev_b32_e32 v16, 29, v7
	v_sub_u32_e32 v12, 31, v10
	v_alignbit_b32 v8, v9, v8, v12
	v_lshlrev_b32_e32 v9, 31, v16
	v_or_b32_e32 v12, 0x33800000, v9
	v_add_lshl_u32 v10, v10, v11, 23
	v_lshrrev_b32_e32 v8, 9, v8
	v_sub_u32_e32 v10, v12, v10
	v_or_b32_e32 v8, v10, v8
	v_alignbit_b32 v10, v11, v13, 9
	v_or_b32_e32 v9, v10, v9
	v_xor_b32_e32 v9, 1.0, v9
	s_mov_b32 s4, 0x3fc90fda
	v_mul_f32_e32 v10, 0x3fc90fda, v9
	v_fma_f32 v11, v9, s4, -v10
	v_fmamk_f32 v9, v9, 0x33a22168, v11
	v_fmac_f32_e32 v9, 0x3fc90fda, v8
	v_lshrrev_b32_e32 v7, 30, v7
	v_add_f32_e32 v8, v10, v9
	v_add_u32_e32 v7, v17, v7
	s_andn2_saveexec_b64 s[4:5], s[10:11]
	s_cbranch_execnz .LBB0_7
	s_branch .LBB0_8
.LBB0_6:
	s_andn2_saveexec_b64 s[4:5], s[10:11]
.LBB0_7:
	s_mov_b32 s6, 0x3f22f983
	v_mul_f32_e64 v7, |v2|, s6
	v_rndne_f32_e32 v8, v7
	s_mov_b32 s6, 0xbfc90fda
	v_cvt_i32_f32_e32 v7, v8
	v_fma_f32 v9, v8, s6, |v2|
	v_fmamk_f32 v9, v8, 0xb3a22168, v9
	v_fmamk_f32 v8, v8, 0xa7c234c4, v9
.LBB0_8:
	s_or_b64 exec, exec, s[4:5]
	v_mov_b32_e32 v10, s42
	v_mov_b32_e32 v11, s43
	v_lshl_add_u64 v[10:11], v[0:1], 2, v[10:11]
	global_load_dword v9, v[10:11], off
	s_brev_b32 s4, 18
                                        ; implicit-def: $vgpr11
                                        ; implicit-def: $vgpr12
	s_waitcnt vmcnt(0)
	v_and_b32_e32 v10, 0x7fffffff, v9
	v_cmp_nlt_f32_e64 s[10:11], |v9|, s4
	v_lshrrev_b32_e32 v15, 23, v10
	s_and_saveexec_b64 s[4:5], s[10:11]
	s_xor_b64 s[12:13], exec, s[4:5]
	s_cbranch_execz .LBB0_10
; %bb.9:
	v_add_u32_e32 v11, 0xffffff88, v15
	v_not_b32_e32 v12, 63
	v_cmp_lt_u32_e32 vcc, 63, v11
	s_mov_b32 s8, 0xfe5163ab
	v_mov_b32_e32 v13, 0
	v_cndmask_b32_e32 v12, 0, v12, vcc
	v_add_u32_e32 v11, v12, v11
	v_not_b32_e32 v12, 31
	v_cmp_lt_u32_e64 s[4:5], 31, v11
	s_nop 1
	v_cndmask_b32_e64 v14, 0, v12, s[4:5]
	v_add_u32_e32 v11, v14, v11
	v_cmp_lt_u32_e64 s[6:7], 31, v11
	s_nop 1
	v_cndmask_b32_e64 v12, 0, v12, s[6:7]
	v_add_u32_e32 v11, v12, v11
	v_and_b32_e32 v12, 0x7fffff, v10
	v_or_b32_e32 v14, 0x800000, v12
	v_mad_u64_u32 v[16:17], s[8:9], v14, s8, 0
	v_mov_b32_e32 v12, v17
	s_mov_b32 s8, 0x3c439041
	v_mad_u64_u32 v[18:19], s[8:9], v14, s8, v[12:13]
	v_mov_b32_e32 v12, v19
	s_mov_b32 s8, 0xdb629599
	;; [unrolled: 3-line block ×6, first 2 shown]
	v_mad_u64_u32 v[12:13], s[8:9], v14, s8, v[12:13]
	v_cndmask_b32_e32 v17, v26, v22, vcc
	v_cndmask_b32_e32 v12, v12, v24, vcc
	;; [unrolled: 1-line block ×3, first 2 shown]
	v_cndmask_b32_e64 v14, v12, v17, s[4:5]
	v_cndmask_b32_e64 v12, v13, v12, s[4:5]
	v_cndmask_b32_e32 v13, v24, v20, vcc
	v_cndmask_b32_e64 v17, v17, v13, s[4:5]
	v_cndmask_b32_e64 v12, v12, v14, s[6:7]
	;; [unrolled: 1-line block ×3, first 2 shown]
	v_sub_u32_e32 v19, 32, v11
	v_alignbit_b32 v21, v12, v14, v19
	v_cmp_eq_u32_e64 s[8:9], 0, v11
	v_cndmask_b32_e32 v16, v20, v16, vcc
	s_nop 0
	v_cndmask_b32_e64 v11, v21, v12, s[8:9]
	v_cndmask_b32_e32 v12, v22, v18, vcc
	v_cndmask_b32_e64 v13, v13, v12, s[4:5]
	v_cndmask_b32_e64 v17, v17, v13, s[6:7]
	v_alignbit_b32 v18, v14, v17, v19
	v_cndmask_b32_e64 v14, v18, v14, s[8:9]
	v_bfe_u32 v22, v11, 29, 1
	v_alignbit_b32 v18, v11, v14, 30
	v_sub_u32_e32 v23, 0, v22
	v_cndmask_b32_e64 v12, v12, v16, s[4:5]
	v_xor_b32_e32 v24, v18, v23
	v_cndmask_b32_e64 v12, v13, v12, s[6:7]
	v_alignbit_b32 v13, v17, v12, v19
	v_ffbh_u32_e32 v16, v24
	v_cndmask_b32_e64 v13, v13, v17, s[8:9]
	v_add_u32_e32 v16, 1, v16
	v_cmp_ne_u32_e32 vcc, v18, v23
	v_alignbit_b32 v14, v14, v13, 30
	v_alignbit_b32 v12, v13, v12, 30
	v_cndmask_b32_e32 v16, 33, v16, vcc
	v_xor_b32_e32 v14, v14, v23
	v_sub_u32_e32 v17, 32, v16
	v_xor_b32_e32 v12, v12, v23
	v_alignbit_b32 v18, v24, v14, v17
	v_alignbit_b32 v12, v14, v12, v17
	;; [unrolled: 1-line block ×3, first 2 shown]
	v_ffbh_u32_e32 v14, v13
	v_min_u32_e32 v14, 32, v14
	v_lshrrev_b32_e32 v21, 29, v11
	v_sub_u32_e32 v17, 31, v14
	v_alignbit_b32 v12, v13, v12, v17
	v_lshlrev_b32_e32 v13, 31, v21
	v_or_b32_e32 v17, 0x33800000, v13
	v_add_lshl_u32 v14, v14, v16, 23
	v_lshrrev_b32_e32 v12, 9, v12
	v_sub_u32_e32 v14, v17, v14
	v_or_b32_e32 v12, v14, v12
	v_alignbit_b32 v14, v16, v18, 9
	v_or_b32_e32 v13, v14, v13
	v_xor_b32_e32 v13, 1.0, v13
	s_mov_b32 s4, 0x3fc90fda
	v_mul_f32_e32 v14, 0x3fc90fda, v13
	v_fma_f32 v16, v13, s4, -v14
	v_fmamk_f32 v13, v13, 0x33a22168, v16
	v_fmac_f32_e32 v13, 0x3fc90fda, v12
	v_lshrrev_b32_e32 v11, 30, v11
	v_add_f32_e32 v12, v14, v13
	v_add_u32_e32 v11, v22, v11
	s_andn2_saveexec_b64 s[4:5], s[12:13]
	s_branch .LBB0_11
.LBB0_10:
	s_andn2_saveexec_b64 s[4:5], s[12:13]
.LBB0_11:
	s_mov_b32 s6, 0x3f22f983
	v_mul_f32_e64 v11, |v9|, s6
	v_rndne_f32_e32 v12, v11
	s_mov_b32 s6, 0xbfc90fda
	v_cvt_i32_f32_e32 v11, v12
	v_fma_f32 v13, v12, s6, |v9|
	v_fmamk_f32 v13, v12, 0xb3a22168, v13
	v_fmamk_f32 v12, v12, 0xa7c234c4, v13
; %bb.12:
	s_or_b64 exec, exec, s[4:5]
                                        ; implicit-def: $vgpr13
                                        ; implicit-def: $vgpr14
	s_and_saveexec_b64 s[4:5], s[10:11]
	s_xor_b64 s[10:11], exec, s[4:5]
	s_cbranch_execz .LBB0_14
; %bb.13:
	v_add_u32_e32 v13, 0xffffff88, v15
	v_not_b32_e32 v14, 63
	v_cmp_lt_u32_e32 vcc, 63, v13
	s_mov_b32 s8, 0xfe5163ab
	v_mov_b32_e32 v15, 0
	v_cndmask_b32_e32 v14, 0, v14, vcc
	v_add_u32_e32 v13, v14, v13
	v_not_b32_e32 v14, 31
	v_cmp_lt_u32_e64 s[4:5], 31, v13
	s_nop 1
	v_cndmask_b32_e64 v16, 0, v14, s[4:5]
	v_add_u32_e32 v13, v16, v13
	v_cmp_lt_u32_e64 s[6:7], 31, v13
	s_nop 1
	v_cndmask_b32_e64 v14, 0, v14, s[6:7]
	v_add_u32_e32 v13, v14, v13
	v_and_b32_e32 v14, 0x7fffff, v10
	v_or_b32_e32 v28, 0x800000, v14
	v_mad_u64_u32 v[16:17], s[8:9], v28, s8, 0
	v_mov_b32_e32 v14, v17
	s_mov_b32 s8, 0x3c439041
	v_mad_u64_u32 v[18:19], s[8:9], v28, s8, v[14:15]
	v_mov_b32_e32 v14, v19
	s_mov_b32 s8, 0xdb629599
	;; [unrolled: 3-line block ×6, first 2 shown]
	v_mad_u64_u32 v[14:15], s[8:9], v28, s8, v[14:15]
	v_cndmask_b32_e32 v17, v26, v22, vcc
	v_cndmask_b32_e32 v14, v14, v24, vcc
	;; [unrolled: 1-line block ×3, first 2 shown]
	v_cndmask_b32_e64 v19, v14, v17, s[4:5]
	v_cndmask_b32_e64 v14, v15, v14, s[4:5]
	v_cndmask_b32_e32 v15, v24, v20, vcc
	v_cndmask_b32_e64 v17, v17, v15, s[4:5]
	v_cndmask_b32_e64 v14, v14, v19, s[6:7]
	;; [unrolled: 1-line block ×3, first 2 shown]
	v_sub_u32_e32 v21, 32, v13
	v_alignbit_b32 v23, v14, v19, v21
	v_cmp_eq_u32_e64 s[8:9], 0, v13
	v_cndmask_b32_e32 v16, v20, v16, vcc
	s_nop 0
	v_cndmask_b32_e64 v13, v23, v14, s[8:9]
	v_cndmask_b32_e32 v14, v22, v18, vcc
	v_cndmask_b32_e64 v15, v15, v14, s[4:5]
	v_cndmask_b32_e64 v17, v17, v15, s[6:7]
	v_alignbit_b32 v18, v19, v17, v21
	v_cndmask_b32_e64 v18, v18, v19, s[8:9]
	v_bfe_u32 v23, v13, 29, 1
	v_cndmask_b32_e64 v14, v14, v16, s[4:5]
	v_alignbit_b32 v19, v13, v18, 30
	v_sub_u32_e32 v24, 0, v23
	v_cndmask_b32_e64 v14, v15, v14, s[6:7]
	v_xor_b32_e32 v25, v19, v24
	v_alignbit_b32 v15, v17, v14, v21
	v_cndmask_b32_e64 v15, v15, v17, s[8:9]
	v_ffbh_u32_e32 v17, v25
	v_add_u32_e32 v17, 1, v17
	v_cmp_ne_u32_e32 vcc, v19, v24
	v_alignbit_b32 v16, v18, v15, 30
	v_alignbit_b32 v14, v15, v14, 30
	v_cndmask_b32_e32 v17, 33, v17, vcc
	v_xor_b32_e32 v16, v16, v24
	v_sub_u32_e32 v18, 32, v17
	v_xor_b32_e32 v14, v14, v24
	v_alignbit_b32 v19, v25, v16, v18
	v_alignbit_b32 v14, v16, v14, v18
	;; [unrolled: 1-line block ×3, first 2 shown]
	v_ffbh_u32_e32 v16, v15
	v_min_u32_e32 v16, 32, v16
	v_lshrrev_b32_e32 v22, 29, v13
	v_sub_u32_e32 v18, 31, v16
	v_alignbit_b32 v14, v15, v14, v18
	v_lshlrev_b32_e32 v15, 31, v22
	v_or_b32_e32 v18, 0x33800000, v15
	v_add_lshl_u32 v16, v16, v17, 23
	v_lshrrev_b32_e32 v14, 9, v14
	v_sub_u32_e32 v16, v18, v16
	v_or_b32_e32 v14, v16, v14
	v_alignbit_b32 v16, v17, v19, 9
	v_or_b32_e32 v15, v16, v15
	v_xor_b32_e32 v15, 1.0, v15
	s_mov_b32 s4, 0x3fc90fda
	v_mul_f32_e32 v16, 0x3fc90fda, v15
	v_fma_f32 v17, v15, s4, -v16
	v_fmamk_f32 v15, v15, 0x33a22168, v17
	v_fmac_f32_e32 v15, 0x3fc90fda, v14
	v_lshrrev_b32_e32 v13, 30, v13
	v_add_f32_e32 v14, v16, v15
	v_add_u32_e32 v13, v23, v13
	s_andn2_saveexec_b64 s[4:5], s[10:11]
	s_cbranch_execnz .LBB0_15
	s_branch .LBB0_16
.LBB0_14:
	s_andn2_saveexec_b64 s[4:5], s[10:11]
.LBB0_15:
	s_mov_b32 s6, 0x3f22f983
	v_mul_f32_e64 v13, |v9|, s6
	v_rndne_f32_e32 v14, v13
	s_mov_b32 s6, 0xbfc90fda
	v_cvt_i32_f32_e32 v13, v14
	v_fma_f32 v15, v14, s6, |v9|
	v_fmamk_f32 v15, v14, 0xb3a22168, v15
	v_fmamk_f32 v14, v14, 0xa7c234c4, v15
.LBB0_16:
	s_or_b64 exec, exec, s[4:5]
	v_mov_b32_e32 v16, s44
	v_mov_b32_e32 v17, s45
	v_lshl_add_u64 v[16:17], v[0:1], 2, v[16:17]
	global_load_dword v15, v[16:17], off
	s_brev_b32 s4, 18
                                        ; implicit-def: $vgpr19
                                        ; implicit-def: $vgpr20
	s_waitcnt vmcnt(0)
	v_and_b32_e32 v16, 0x7fffffff, v15
	v_cmp_nlt_f32_e64 s[10:11], |v15|, s4
	v_lshrrev_b32_e32 v21, 23, v16
	s_and_saveexec_b64 s[4:5], s[10:11]
	s_xor_b64 s[12:13], exec, s[4:5]
	s_cbranch_execz .LBB0_18
; %bb.17:
	v_add_u32_e32 v17, 0xffffff88, v21
	v_not_b32_e32 v18, 63
	v_cmp_lt_u32_e32 vcc, 63, v17
	s_mov_b32 s8, 0xfe5163ab
	v_mov_b32_e32 v19, 0
	v_cndmask_b32_e32 v18, 0, v18, vcc
	v_add_u32_e32 v17, v18, v17
	v_not_b32_e32 v18, 31
	v_cmp_lt_u32_e64 s[4:5], 31, v17
	s_nop 1
	v_cndmask_b32_e64 v20, 0, v18, s[4:5]
	v_add_u32_e32 v17, v20, v17
	v_cmp_lt_u32_e64 s[6:7], 31, v17
	s_nop 1
	v_cndmask_b32_e64 v18, 0, v18, s[6:7]
	v_add_u32_e32 v17, v18, v17
	v_and_b32_e32 v18, 0x7fffff, v16
	v_or_b32_e32 v20, 0x800000, v18
	v_mad_u64_u32 v[22:23], s[8:9], v20, s8, 0
	v_mov_b32_e32 v18, v23
	s_mov_b32 s8, 0x3c439041
	v_mad_u64_u32 v[24:25], s[8:9], v20, s8, v[18:19]
	v_mov_b32_e32 v18, v25
	s_mov_b32 s8, 0xdb629599
	;; [unrolled: 3-line block ×6, first 2 shown]
	v_mad_u64_u32 v[18:19], s[8:9], v20, s8, v[18:19]
	v_cndmask_b32_e32 v23, v32, v28, vcc
	v_cndmask_b32_e32 v18, v18, v30, vcc
	;; [unrolled: 1-line block ×3, first 2 shown]
	v_cndmask_b32_e64 v20, v18, v23, s[4:5]
	v_cndmask_b32_e64 v18, v19, v18, s[4:5]
	v_cndmask_b32_e32 v19, v30, v26, vcc
	v_cndmask_b32_e64 v23, v23, v19, s[4:5]
	v_cndmask_b32_e64 v18, v18, v20, s[6:7]
	;; [unrolled: 1-line block ×3, first 2 shown]
	v_sub_u32_e32 v25, 32, v17
	v_alignbit_b32 v27, v18, v20, v25
	v_cmp_eq_u32_e64 s[8:9], 0, v17
	v_cndmask_b32_e32 v22, v26, v22, vcc
	s_nop 0
	v_cndmask_b32_e64 v17, v27, v18, s[8:9]
	v_cndmask_b32_e32 v18, v28, v24, vcc
	v_cndmask_b32_e64 v19, v19, v18, s[4:5]
	v_cndmask_b32_e64 v23, v23, v19, s[6:7]
	v_alignbit_b32 v24, v20, v23, v25
	v_cndmask_b32_e64 v20, v24, v20, s[8:9]
	v_bfe_u32 v28, v17, 29, 1
	v_alignbit_b32 v24, v17, v20, 30
	v_sub_u32_e32 v29, 0, v28
	v_cndmask_b32_e64 v18, v18, v22, s[4:5]
	v_xor_b32_e32 v30, v24, v29
	v_cndmask_b32_e64 v18, v19, v18, s[6:7]
	v_alignbit_b32 v19, v23, v18, v25
	v_ffbh_u32_e32 v22, v30
	v_cndmask_b32_e64 v19, v19, v23, s[8:9]
	v_add_u32_e32 v22, 1, v22
	v_cmp_ne_u32_e32 vcc, v24, v29
	v_alignbit_b32 v20, v20, v19, 30
	v_alignbit_b32 v18, v19, v18, 30
	v_cndmask_b32_e32 v22, 33, v22, vcc
	v_xor_b32_e32 v20, v20, v29
	v_sub_u32_e32 v23, 32, v22
	v_xor_b32_e32 v18, v18, v29
	v_alignbit_b32 v24, v30, v20, v23
	v_alignbit_b32 v18, v20, v18, v23
	;; [unrolled: 1-line block ×3, first 2 shown]
	v_ffbh_u32_e32 v20, v19
	v_min_u32_e32 v20, 32, v20
	v_lshrrev_b32_e32 v27, 29, v17
	v_sub_u32_e32 v23, 31, v20
	v_alignbit_b32 v18, v19, v18, v23
	v_lshlrev_b32_e32 v19, 31, v27
	v_or_b32_e32 v23, 0x33800000, v19
	v_add_lshl_u32 v20, v20, v22, 23
	v_lshrrev_b32_e32 v18, 9, v18
	v_sub_u32_e32 v20, v23, v20
	v_or_b32_e32 v18, v20, v18
	v_alignbit_b32 v20, v22, v24, 9
	v_or_b32_e32 v19, v20, v19
	v_xor_b32_e32 v19, 1.0, v19
	s_mov_b32 s4, 0x3fc90fda
	v_mul_f32_e32 v20, 0x3fc90fda, v19
	v_fma_f32 v22, v19, s4, -v20
	v_fmamk_f32 v19, v19, 0x33a22168, v22
	v_fmac_f32_e32 v19, 0x3fc90fda, v18
	v_lshrrev_b32_e32 v17, 30, v17
	v_add_f32_e32 v20, v20, v19
	v_add_u32_e32 v19, v28, v17
	s_andn2_saveexec_b64 s[4:5], s[12:13]
	s_branch .LBB0_19
.LBB0_18:
	s_andn2_saveexec_b64 s[4:5], s[12:13]
.LBB0_19:
	s_mov_b32 s6, 0x3f22f983
	v_mul_f32_e64 v17, |v15|, s6
	v_rndne_f32_e32 v17, v17
	s_mov_b32 s6, 0xbfc90fda
	v_cvt_i32_f32_e32 v19, v17
	v_fma_f32 v18, v17, s6, |v15|
	v_fmamk_f32 v18, v17, 0xb3a22168, v18
	v_fmamk_f32 v20, v17, 0xa7c234c4, v18
; %bb.20:
	s_or_b64 exec, exec, s[4:5]
                                        ; implicit-def: $vgpr17
                                        ; implicit-def: $vgpr18
	s_and_saveexec_b64 s[4:5], s[10:11]
	s_xor_b64 s[10:11], exec, s[4:5]
	s_cbranch_execz .LBB0_22
; %bb.21:
	v_add_u32_e32 v17, 0xffffff88, v21
	v_not_b32_e32 v18, 63
	v_cmp_lt_u32_e32 vcc, 63, v17
	s_mov_b32 s8, 0xfe5163ab
	v_mov_b32_e32 v23, 0
	v_cndmask_b32_e32 v18, 0, v18, vcc
	v_add_u32_e32 v17, v18, v17
	v_not_b32_e32 v18, 31
	v_cmp_lt_u32_e64 s[4:5], 31, v17
	s_nop 1
	v_cndmask_b32_e64 v21, 0, v18, s[4:5]
	v_add_u32_e32 v17, v21, v17
	v_cmp_lt_u32_e64 s[6:7], 31, v17
	s_nop 1
	v_cndmask_b32_e64 v18, 0, v18, s[6:7]
	v_add_u32_e32 v17, v18, v17
	v_and_b32_e32 v18, 0x7fffff, v16
	v_or_b32_e32 v18, 0x800000, v18
	v_mad_u64_u32 v[24:25], s[8:9], v18, s8, 0
	v_mov_b32_e32 v22, v25
	s_mov_b32 s8, 0x3c439041
	v_mad_u64_u32 v[26:27], s[8:9], v18, s8, v[22:23]
	v_mov_b32_e32 v22, v27
	s_mov_b32 s8, 0xdb629599
	;; [unrolled: 3-line block ×6, first 2 shown]
	v_mad_u64_u32 v[22:23], s[8:9], v18, s8, v[22:23]
	v_cndmask_b32_e32 v21, v34, v30, vcc
	v_cndmask_b32_e32 v18, v22, v32, vcc
	v_cndmask_b32_e32 v23, v23, v34, vcc
	v_cndmask_b32_e64 v22, v18, v21, s[4:5]
	v_cndmask_b32_e64 v18, v23, v18, s[4:5]
	v_cndmask_b32_e32 v23, v32, v28, vcc
	v_cndmask_b32_e64 v21, v21, v23, s[4:5]
	v_cndmask_b32_e64 v18, v18, v22, s[6:7]
	;; [unrolled: 1-line block ×3, first 2 shown]
	v_sub_u32_e32 v25, 32, v17
	v_alignbit_b32 v27, v18, v22, v25
	v_cmp_eq_u32_e64 s[8:9], 0, v17
	v_cndmask_b32_e32 v24, v28, v24, vcc
	s_nop 0
	v_cndmask_b32_e64 v17, v27, v18, s[8:9]
	v_cndmask_b32_e32 v18, v30, v26, vcc
	v_cndmask_b32_e64 v23, v23, v18, s[4:5]
	v_cndmask_b32_e64 v21, v21, v23, s[6:7]
	v_alignbit_b32 v26, v22, v21, v25
	v_cndmask_b32_e64 v22, v26, v22, s[8:9]
	v_bfe_u32 v29, v17, 29, 1
	v_cndmask_b32_e64 v18, v18, v24, s[4:5]
	v_alignbit_b32 v26, v17, v22, 30
	v_sub_u32_e32 v30, 0, v29
	v_cndmask_b32_e64 v18, v23, v18, s[6:7]
	v_xor_b32_e32 v31, v26, v30
	v_alignbit_b32 v23, v21, v18, v25
	v_cndmask_b32_e64 v21, v23, v21, s[8:9]
	v_ffbh_u32_e32 v23, v31
	v_add_u32_e32 v23, 1, v23
	v_cmp_ne_u32_e32 vcc, v26, v30
	v_alignbit_b32 v22, v22, v21, 30
	v_alignbit_b32 v18, v21, v18, 30
	v_cndmask_b32_e32 v23, 33, v23, vcc
	v_xor_b32_e32 v22, v22, v30
	v_sub_u32_e32 v24, 32, v23
	v_xor_b32_e32 v18, v18, v30
	v_alignbit_b32 v25, v31, v22, v24
	v_alignbit_b32 v18, v22, v18, v24
	;; [unrolled: 1-line block ×3, first 2 shown]
	v_ffbh_u32_e32 v22, v21
	v_min_u32_e32 v22, 32, v22
	v_lshrrev_b32_e32 v27, 29, v17
	v_sub_u32_e32 v24, 31, v22
	v_alignbit_b32 v18, v21, v18, v24
	v_lshlrev_b32_e32 v21, 31, v27
	v_or_b32_e32 v24, 0x33800000, v21
	v_add_lshl_u32 v22, v22, v23, 23
	v_lshrrev_b32_e32 v18, 9, v18
	v_sub_u32_e32 v22, v24, v22
	v_or_b32_e32 v18, v22, v18
	v_alignbit_b32 v22, v23, v25, 9
	v_or_b32_e32 v21, v22, v21
	v_xor_b32_e32 v21, 1.0, v21
	s_mov_b32 s4, 0x3fc90fda
	v_mul_f32_e32 v22, 0x3fc90fda, v21
	v_fma_f32 v23, v21, s4, -v22
	v_fmamk_f32 v21, v21, 0x33a22168, v23
	v_fmac_f32_e32 v21, 0x3fc90fda, v18
	v_lshrrev_b32_e32 v17, 30, v17
	v_add_f32_e32 v18, v22, v21
	v_add_u32_e32 v17, v29, v17
	s_andn2_saveexec_b64 s[4:5], s[10:11]
	s_cbranch_execnz .LBB0_23
	s_branch .LBB0_24
.LBB0_22:
	s_andn2_saveexec_b64 s[4:5], s[10:11]
.LBB0_23:
	s_mov_b32 s6, 0x3f22f983
	v_mul_f32_e64 v17, |v15|, s6
	v_rndne_f32_e32 v18, v17
	s_mov_b32 s6, 0xbfc90fda
	v_cvt_i32_f32_e32 v17, v18
	v_fma_f32 v21, v18, s6, |v15|
	v_fmamk_f32 v21, v18, 0xb3a22168, v21
	v_fmamk_f32 v18, v18, 0xa7c234c4, v21
.LBB0_24:
	s_or_b64 exec, exec, s[4:5]
	v_mul_f32_e32 v21, v20, v20
	v_mov_b32_e32 v22, 0x3c0881c4
	v_fmamk_f32 v23, v21, 0xb94c1982, v22
	v_fmaak_f32 v23, v21, v23, 0xbe2aaa9d
	v_mul_f32_e32 v23, v21, v23
	v_fmac_f32_e32 v20, v20, v23
	v_mov_b32_e32 v23, 0xbab64f3b
	v_fmamk_f32 v25, v21, 0x37d75334, v23
	v_fmaak_f32 v25, v21, v25, 0x3d2aabf7
	v_fmaak_f32 v25, v21, v25, 0xbf000004
	v_fma_f32 v21, v21, v25, 1.0
	v_and_b32_e32 v25, 1, v19
	v_lshlrev_b32_e32 v19, 30, v19
	v_cmp_eq_u32_e32 vcc, 0, v25
	v_and_b32_e32 v19, 0x80000000, v19
	v_xor_b32_e32 v16, v16, v15
	s_movk_i32 s8, 0x1f8
	v_cndmask_b32_e32 v20, v21, v20, vcc
	v_xor_b32_e32 v16, v16, v19
	v_cmp_class_f32_e64 vcc, v15, s8
	v_mul_f32_e32 v15, v14, v14
	v_xor_b32_e32 v16, v16, v20
	v_fmamk_f32 v20, v15, 0xb94c1982, v22
	v_fmaak_f32 v20, v15, v20, 0xbe2aaa9d
	v_mul_f32_e32 v20, v15, v20
	v_fmac_f32_e32 v14, v14, v20
	v_fmamk_f32 v20, v15, 0x37d75334, v23
	v_fmaak_f32 v20, v15, v20, 0x3d2aabf7
	v_fmaak_f32 v20, v15, v20, 0xbf000004
	v_fma_f32 v15, v15, v20, 1.0
	v_and_b32_e32 v20, 1, v13
	v_cmp_eq_u32_e64 s[4:5], 0, v20
	v_lshlrev_b32_e32 v13, 30, v13
	v_and_b32_e32 v13, 0x80000000, v13
	v_cndmask_b32_e64 v14, -v14, v15, s[4:5]
	v_mov_b32_e32 v19, 0x7fc00000
	v_xor_b32_e32 v13, v13, v14
	v_cmp_class_f32_e64 s[4:5], v9, s8
	v_xor_b32_e32 v9, v10, v9
	v_lshlrev_b64 v[0:1], 2, v[0:1]
	v_cndmask_b32_e64 v20, v19, v13, s[4:5]
	v_mul_f32_e32 v13, v12, v12
	v_fmamk_f32 v14, v13, 0xb94c1982, v22
	v_fmaak_f32 v14, v13, v14, 0xbe2aaa9d
	v_mul_f32_e32 v14, v13, v14
	v_fmac_f32_e32 v12, v12, v14
	v_fmamk_f32 v14, v13, 0x37d75334, v23
	v_fmaak_f32 v14, v13, v14, 0x3d2aabf7
	v_fmaak_f32 v14, v13, v14, 0xbf000004
	v_fma_f32 v13, v13, v14, 1.0
	v_and_b32_e32 v14, 1, v11
	v_lshlrev_b32_e32 v11, 30, v11
	v_cmp_eq_u32_e64 s[6:7], 0, v14
	v_and_b32_e32 v11, 0x80000000, v11
	v_mul_f32_e32 v14, v8, v8
	v_cndmask_b32_e64 v12, v13, v12, s[6:7]
	v_xor_b32_e32 v9, v9, v11
	v_fmamk_f32 v10, v14, 0xb94c1982, v22
	v_xor_b32_e32 v9, v9, v12
	v_fmaak_f32 v15, v14, v10, 0xbe2aaa9d
	v_lshl_add_u64 v[10:11], s[46:47], 0, v[0:1]
	v_lshl_add_u64 v[12:13], s[48:49], 0, v[0:1]
	v_lshl_add_u64 v[0:1], s[50:51], 0, v[0:1]
	global_load_dword v10, v[10:11], off
	v_cndmask_b32_e64 v9, v19, v9, s[4:5]
	global_load_dword v11, v[12:13], off
	v_mov_b32_e32 v24, 0xbe2aaa9d
	global_load_dword v12, v[0:1], off
	v_mul_f32_e32 v0, v14, v15
	v_fmac_f32_e32 v8, v8, v0
	v_fmamk_f32 v0, v14, 0x37d75334, v23
	v_fmaak_f32 v0, v14, v0, 0x3d2aabf7
	v_fmaak_f32 v0, v14, v0, 0xbf000004
	v_and_b32_e32 v1, 1, v7
	v_fma_f32 v0, v14, v0, 1.0
	v_cmp_eq_u32_e64 s[4:5], 0, v1
	v_lshlrev_b32_e32 v1, 30, v7
	v_and_b32_e32 v1, 0x80000000, v1
	v_cndmask_b32_e64 v0, -v8, v0, s[4:5]
	v_xor_b32_e32 v0, v1, v0
	v_mul_f32_e32 v1, v6, v6
	v_fmamk_f32 v7, v1, 0xb94c1982, v22
	v_fmaak_f32 v7, v1, v7, 0xbe2aaa9d
	v_mul_f32_e32 v7, v1, v7
	v_fmac_f32_e32 v6, v6, v7
	v_fmamk_f32 v7, v1, 0x37d75334, v23
	v_fmaak_f32 v7, v1, v7, 0x3d2aabf7
	v_fmaak_f32 v7, v1, v7, 0xbf000004
	v_fma_f32 v1, v1, v7, 1.0
	v_and_b32_e32 v7, 1, v5
	v_lshlrev_b32_e32 v5, 30, v5
	v_cmp_class_f32_e64 s[4:5], v2, s8
	v_cmp_eq_u32_e64 s[6:7], 0, v7
	v_and_b32_e32 v5, 0x80000000, v5
	v_xor_b32_e32 v2, v3, v2
	v_cndmask_b32_e64 v1, v1, v6, s[6:7]
	v_xor_b32_e32 v2, v2, v5
	v_xor_b32_e32 v1, v2, v1
	v_mul_f32_e32 v2, v18, v18
	v_fmac_f32_e32 v22, 0xb94c1982, v2
	v_mov_b32_e32 v26, 0x3d2aabf7
	v_fmac_f32_e32 v24, v2, v22
	v_fmac_f32_e32 v23, 0x37d75334, v2
	v_mov_b32_e32 v27, 0xbf000004
	v_mul_f32_e32 v3, v2, v24
	v_fmac_f32_e32 v26, v2, v23
	v_fmac_f32_e32 v18, v18, v3
	v_fmac_f32_e32 v27, v2, v26
	v_and_b32_e32 v3, 1, v17
	v_cndmask_b32_e64 v0, v19, v0, s[4:5]
	v_cndmask_b32_e64 v1, v19, v1, s[4:5]
	s_load_dwordx2 s[4:5], s[0:1], 0x0
	s_load_dwordx4 s[20:23], s[0:1], 0x48
	v_fma_f32 v2, v2, v27, 1.0
	v_cmp_eq_u32_e64 s[0:1], 0, v3
	v_lshlrev_b32_e32 v3, 30, v17
	v_and_b32_e32 v3, 0x80000000, v3
	v_cndmask_b32_e64 v2, -v18, v2, s[0:1]
	v_cndmask_b32_e32 v16, v19, v16, vcc
	v_xor_b32_e32 v2, v3, v2
	v_cndmask_b32_e32 v2, v19, v2, vcc
	v_mul_f32_e32 v3, v1, v9
	v_mul_f32_e32 v6, v0, v16
	v_fma_f32 v8, v3, v2, -v6
	v_mul_f32_e32 v6, v0, v9
	s_waitcnt lgkmcnt(0)
	s_max_i32 s30, s5, 1
	s_max_i32 s31, s4, 1
	s_mov_b32 s25, 0
	v_mul_f32_e32 v5, v20, v2
	v_mul_f32_e32 v13, v6, v2
	;; [unrolled: 1-line block ×4, first 2 shown]
	s_add_u32 s26, s36, 8
	v_fmac_f32_e32 v13, v1, v16
	v_mul_f32_e32 v14, v20, v16
	v_fmac_f32_e32 v15, v3, v16
	v_fma_f32 v16, v6, v16, -v2
	v_mul_f32_e32 v17, v1, v20
	v_mul_f32_e32 v18, v0, v20
	s_addc_u32 s27, s37, 0
	v_mov_b32_e32 v20, 0
	s_movk_i32 s33, 0x46
	s_movk_i32 s34, 0x45
	v_mov_b32_e32 v21, 0x40b00000
	v_mov_b32_e32 v22, 0xff7fffff
	s_mov_b32 s35, 0xf800000
	v_mov_b32_e32 v23, 0x260
	v_mov_b32_e32 v24, 0x3e800000
	;; [unrolled: 1-line block ×4, first 2 shown]
	s_mov_b32 s24, s25
.LBB0_25:                               ; =>This Loop Header: Depth=1
                                        ;     Child Loop BB0_26 Depth 2
	s_lshl_b64 s[0:1], s[24:25], 4
	s_add_u32 s0, s38, s0
	s_addc_u32 s1, s39, s1
	global_load_dwordx4 v[28:31], v20, s[0:1]
	s_mov_b32 s36, s30
	s_mov_b64 s[28:29], s[26:27]
	s_waitcnt vmcnt(0)
	v_ashrrev_i32_e32 v1, 31, v31
	v_mov_b32_e32 v0, v31
	v_lshlrev_b64 v[0:1], 4, v[0:1]
	v_lshl_add_u64 v[0:1], s[22:23], 0, v[0:1]
	global_load_dwordx4 v[0:3], v[0:1], off
	v_fma_f32 v26, v5, v28, v10
	v_fma_f32 v27, v14, v28, v11
	v_fma_f32 v28, -v9, v28, v12
	v_fmac_f32_e32 v26, v8, v29
	v_fmac_f32_e32 v27, v15, v29
	;; [unrolled: 1-line block ×6, first 2 shown]
	s_waitcnt vmcnt(0)
	v_cmp_gt_f32_e64 s[8:9], 0, v2
	v_cmp_lt_f32_e64 s[0:1], 0, v2
	v_cmp_eq_u32_e64 s[4:5], s33, v0
	v_cmp_eq_u32_e64 s[6:7], s34, v0
	v_cndmask_b32_e64 v0, 1.0, v21, s[8:9]
	v_mov_b32_e32 v6, v3
	v_cndmask_b32_e64 v3, v22, 1.0, s[8:9]
.LBB0_26:                               ;   Parent Loop BB0_25 Depth=1
                                        ; =>  This Inner Loop Header: Depth=2
	global_load_dwordx4 v[30:33], v20, s[28:29] offset:-8
	s_waitcnt vmcnt(0)
	v_ashrrev_i32_e32 v35, 31, v33
	v_mov_b32_e32 v34, v33
	v_lshlrev_b64 v[34:35], 4, v[34:35]
	v_lshl_add_u64 v[34:35], s[22:23], 0, v[34:35]
	global_load_dwordx4 v[34:37], v[34:35], off
	v_sub_f32_e32 v29, v27, v31
	v_sub_f32_e32 v7, v26, v30
	v_mul_f32_e32 v29, v29, v29
	v_sub_f32_e32 v30, v28, v32
	v_fmac_f32_e32 v29, v7, v7
	v_fmac_f32_e32 v29, v30, v30
	v_mul_f32_e32 v7, 0x4f800000, v29
	v_cmp_gt_f32_e32 vcc, s35, v29
	s_waitcnt vmcnt(0)
	v_cmp_lt_f32_e64 s[12:13], 0, v36
	v_cndmask_b32_e32 v7, v29, v7, vcc
	v_sqrt_f32_e32 v29, v7
	v_cmp_gt_f32_e64 s[16:17], 0, v36
	s_and_b64 s[12:13], s[12:13], s[8:9]
	v_cmp_neq_f32_e64 s[14:15], 0, v36
	v_add_u32_e32 v30, -1, v29
	v_add_u32_e32 v31, 1, v29
	v_fma_f32 v32, -v30, v29, v7
	v_fma_f32 v33, -v31, v29, v7
	v_cmp_ge_f32_e64 s[10:11], 0, v32
	v_add_f32_e32 v32, v1, v35
	s_nop 0
	v_cndmask_b32_e64 v29, v29, v30, s[10:11]
	v_cmp_lt_f32_e64 s[10:11], 0, v33
	v_cndmask_b32_e64 v33, v3, v0, s[16:17]
	s_and_b64 s[16:17], s[16:17], s[0:1]
	v_cndmask_b32_e64 v29, v29, v31, s[10:11]
	v_mul_f32_e32 v30, 0x37800000, v29
	v_cndmask_b32_e32 v29, v29, v30, vcc
	v_cmp_class_f32_e32 vcc, v7, v23
	v_cmp_eq_u32_e64 s[10:11], s34, v34
	v_mov_b32_e32 v30, v37
	v_cndmask_b32_e32 v29, v29, v7, vcc
	v_cmp_eq_u32_e32 vcc, s33, v34
	v_div_scale_f32 v34, s[18:19], v32, v32, 1.0
	s_and_b64 vcc, vcc, s[4:5]
	v_cndmask_b32_e64 v7, 2.0, 4.0, vcc
	v_cndmask_b32_e64 v31, v36, -v36, s[16:17]
	v_cndmask_b32_e64 v36, v2, -v2, s[12:13]
	v_div_scale_f32 v37, s[12:13], v33, v33, 1.0
	v_sub_f32_e32 v39, v29, v32
	v_rcp_f32_e32 v40, v34
	v_cndmask_b32_e32 v41, 0.5, v24, vcc
	v_rcp_f32_e32 v42, v37
	v_cmp_lt_f32_e32 vcc, v39, v7
	v_add_f32_e32 v36, v31, v36
	v_cmp_gt_f32_e64 s[16:17], 0, v39
	v_cndmask_b32_e64 v7, 0, 1.0, vcc
	v_cmp_lt_f32_e32 vcc, v39, v33
	v_fma_f32 v31, -v39, v41, 1.0
	s_and_b64 s[14:15], s[14:15], vcc
	v_cndmask_b32_e64 v31, v31, 1.0, s[16:17]
	v_cndmask_b32_e64 v41, 0, 1.0, s[14:15]
	v_pk_mul_f32 v[30:31], v[6:7], v[30:31]
	v_fma_f32 v7, -v34, v40, 1.0
	v_div_scale_f32 v35, s[18:19], 1.0, v32, 1.0
	v_mul_f32_e32 v36, v36, v41
	v_fma_f32 v41, -v37, v42, 1.0
	v_mul_f32_e32 v30, v30, v31
	s_or_b64 s[10:11], s[10:11], s[6:7]
	v_fmac_f32_e32 v40, v7, v40
	v_div_scale_f32 v38, s[12:13], 1.0, v33, 1.0
	v_fmac_f32_e32 v42, v41, v42
	v_cndmask_b32_e64 v7, v30, -|v30|, s[10:11]
	v_mul_f32_e32 v30, v35, v40
	v_mul_f32_e32 v31, v38, v42
	v_fma_f32 v41, -v34, v30, v35
	v_fma_f32 v44, -v37, v31, v38
	v_fmac_f32_e32 v30, v41, v40
	v_fmac_f32_e32 v31, v44, v42
	v_fma_f32 v34, -v34, v30, v35
	s_mov_b64 vcc, s[18:19]
	v_fma_f32 v35, -v37, v31, v38
	v_div_fmas_f32 v30, v34, v40, v30
	s_mov_b64 vcc, s[12:13]
	v_div_fixup_f32 v30, v30, v32, 1.0
	v_div_fmas_f32 v31, v35, v42, v31
	v_cndmask_b32_e64 v43, 0, v25, s[16:17]
	v_div_fixup_f32 v31, v31, v33, 1.0
	v_fma_f32 v29, -v29, v30, 1.0
	s_add_u32 s28, s28, 16
	v_fmac_f32_e32 v19, v29, v43
	v_fma_f32 v29, -v39, v31, 1.0
	s_addc_u32 s29, s29, 0
	s_add_i32 s36, s36, -1
	v_fmac_f32_e32 v19, 0x42340000, v7
	v_cndmask_b32_e64 v7, v29, 1.0, s[16:17]
	s_cmp_lg_u32 s36, 0
	v_fmac_f32_e32 v19, v36, v7
	s_cbranch_scc1 .LBB0_26
; %bb.27:                               ;   in Loop: Header=BB0_25 Depth=1
	s_add_i32 s24, s24, 1
	s_cmp_lg_u32 s24, s31
	s_cbranch_scc1 .LBB0_25
; %bb.28:
	s_and_saveexec_b64 s[0:1], s[2:3]
	s_cbranch_execz .LBB0_30
; %bb.29:
	v_mov_b32_e32 v0, s20
	v_mov_b32_e32 v1, s21
	;; [unrolled: 1-line block ×3, first 2 shown]
	v_lshl_add_u64 v[0:1], v[4:5], 2, v[0:1]
	v_mul_f32_e32 v2, 0.5, v19
	global_store_dword v[0:1], v2, off
.LBB0_30:
	s_endpgm
	.section	.rodata,"a",@progbits
	.p2align	6, 0x0
	.amdhsa_kernel _ZL11fasten_mainILm1EEviiPK4AtomS2_PKfS4_S4_S4_S4_S4_PfPK8FFParamsi
		.amdhsa_group_segment_fixed_size 0
		.amdhsa_private_segment_fixed_size 0
		.amdhsa_kernarg_size 352
		.amdhsa_user_sgpr_count 2
		.amdhsa_user_sgpr_dispatch_ptr 0
		.amdhsa_user_sgpr_queue_ptr 0
		.amdhsa_user_sgpr_kernarg_segment_ptr 1
		.amdhsa_user_sgpr_dispatch_id 0
		.amdhsa_user_sgpr_kernarg_preload_length 0
		.amdhsa_user_sgpr_kernarg_preload_offset 0
		.amdhsa_user_sgpr_private_segment_size 0
		.amdhsa_uses_dynamic_stack 0
		.amdhsa_enable_private_segment 0
		.amdhsa_system_sgpr_workgroup_id_x 1
		.amdhsa_system_sgpr_workgroup_id_y 0
		.amdhsa_system_sgpr_workgroup_id_z 0
		.amdhsa_system_sgpr_workgroup_info 0
		.amdhsa_system_vgpr_workitem_id 0
		.amdhsa_next_free_vgpr 45
		.amdhsa_next_free_sgpr 52
		.amdhsa_accum_offset 48
		.amdhsa_reserve_vcc 1
		.amdhsa_float_round_mode_32 0
		.amdhsa_float_round_mode_16_64 0
		.amdhsa_float_denorm_mode_32 3
		.amdhsa_float_denorm_mode_16_64 3
		.amdhsa_dx10_clamp 1
		.amdhsa_ieee_mode 1
		.amdhsa_fp16_overflow 0
		.amdhsa_tg_split 0
		.amdhsa_exception_fp_ieee_invalid_op 0
		.amdhsa_exception_fp_denorm_src 0
		.amdhsa_exception_fp_ieee_div_zero 0
		.amdhsa_exception_fp_ieee_overflow 0
		.amdhsa_exception_fp_ieee_underflow 0
		.amdhsa_exception_fp_ieee_inexact 0
		.amdhsa_exception_int_div_zero 0
	.end_amdhsa_kernel
	.section	.text._ZL11fasten_mainILm1EEviiPK4AtomS2_PKfS4_S4_S4_S4_S4_PfPK8FFParamsi,"axG",@progbits,_ZL11fasten_mainILm1EEviiPK4AtomS2_PKfS4_S4_S4_S4_S4_PfPK8FFParamsi,comdat
.Lfunc_end0:
	.size	_ZL11fasten_mainILm1EEviiPK4AtomS2_PKfS4_S4_S4_S4_S4_PfPK8FFParamsi, .Lfunc_end0-_ZL11fasten_mainILm1EEviiPK4AtomS2_PKfS4_S4_S4_S4_S4_PfPK8FFParamsi
                                        ; -- End function
	.section	.AMDGPU.csdata,"",@progbits
; Kernel info:
; codeLenInByte = 6112
; NumSgprs: 58
; NumVgprs: 45
; NumAgprs: 0
; TotalNumVgprs: 45
; ScratchSize: 0
; MemoryBound: 0
; FloatMode: 240
; IeeeMode: 1
; LDSByteSize: 0 bytes/workgroup (compile time only)
; SGPRBlocks: 7
; VGPRBlocks: 5
; NumSGPRsForWavesPerEU: 58
; NumVGPRsForWavesPerEU: 45
; AccumOffset: 48
; Occupancy: 8
; WaveLimiterHint : 1
; COMPUTE_PGM_RSRC2:SCRATCH_EN: 0
; COMPUTE_PGM_RSRC2:USER_SGPR: 2
; COMPUTE_PGM_RSRC2:TRAP_HANDLER: 0
; COMPUTE_PGM_RSRC2:TGID_X_EN: 1
; COMPUTE_PGM_RSRC2:TGID_Y_EN: 0
; COMPUTE_PGM_RSRC2:TGID_Z_EN: 0
; COMPUTE_PGM_RSRC2:TIDIG_COMP_CNT: 0
; COMPUTE_PGM_RSRC3_GFX90A:ACCUM_OFFSET: 11
; COMPUTE_PGM_RSRC3_GFX90A:TG_SPLIT: 0
	.section	.text._ZL11fasten_mainILm2EEviiPK4AtomS2_PKfS4_S4_S4_S4_S4_PfPK8FFParamsi,"axG",@progbits,_ZL11fasten_mainILm2EEviiPK4AtomS2_PKfS4_S4_S4_S4_S4_PfPK8FFParamsi,comdat
	.globl	_ZL11fasten_mainILm2EEviiPK4AtomS2_PKfS4_S4_S4_S4_S4_PfPK8FFParamsi ; -- Begin function _ZL11fasten_mainILm2EEviiPK4AtomS2_PKfS4_S4_S4_S4_S4_PfPK8FFParamsi
	.p2align	8
	.type	_ZL11fasten_mainILm2EEviiPK4AtomS2_PKfS4_S4_S4_S4_S4_PfPK8FFParamsi,@function
_ZL11fasten_mainILm2EEviiPK4AtomS2_PKfS4_S4_S4_S4_S4_PfPK8FFParamsi: ; @_ZL11fasten_mainILm2EEviiPK4AtomS2_PKfS4_S4_S4_S4_S4_PfPK8FFParamsi
; %bb.0:
	s_load_dword s3, s[0:1], 0x6c
	s_load_dword s4, s[0:1], 0x58
	s_load_dwordx16 s[36:51], s[0:1], 0x8
	v_mov_b32_e32 v10, 0
	v_add_u32_e32 v8, 48, v10
	s_waitcnt lgkmcnt(0)
	s_and_b32 s33, s3, 0xffff
	s_mul_i32 s2, s2, s33
	v_lshl_add_u32 v24, s2, 1, v0
	s_add_i32 s2, s4, -2
	v_mov_b32_e32 v0, s2
	v_cmp_gt_i32_e64 s[2:3], s4, v24
	s_mov_b32 s11, 0
	s_mov_b64 s[12:13], -1
	v_cndmask_b32_e64 v0, v0, v24, s[2:3]
	v_ashrrev_i32_e32 v1, 31, v0
	s_brev_b32 s18, 18
	s_mov_b32 s19, 0xfe5163ab
	s_mov_b32 s20, 0x3c439041
	;; [unrolled: 1-line block ×10, first 2 shown]
	v_mov_b32_e32 v9, 0x3c0881c4
	v_mov_b32_e32 v11, 0xbab64f3b
	s_movk_i32 s29, 0x1f8
	v_mov_b32_e32 v3, 0
	v_not_b32_e32 v12, 63
	v_not_b32_e32 v13, 31
	v_mov_b32_e32 v14, 0x7fc00000
	s_mov_b32 s30, 0
                                        ; implicit-def: $vgpr2
                                        ; implicit-def: $vgpr2
	;; [unrolled: 1-line block ×3, first 2 shown]
                                        ; implicit-def: $vgpr25
                                        ; implicit-def: $vgpr38
.LBB1_1:                                ; =>This Inner Loop Header: Depth=1
	s_mul_i32 s10, s30, s33
	v_lshl_add_u64 v[4:5], s[10:11], 0, v[0:1]
	v_lshl_add_u64 v[6:7], v[4:5], 2, s[40:41]
	global_load_dword v7, v[6:7], off
                                        ; implicit-def: $vgpr16
                                        ; implicit-def: $vgpr17
	s_waitcnt vmcnt(0)
	v_and_b32_e32 v15, 0x7fffffff, v7
	v_lshrrev_b32_e32 v2, 23, v15
	v_and_b32_e32 v6, 0x7fffff, v15
	v_cmp_nlt_f32_e64 s[14:15], |v7|, s18
	v_add_u32_e32 v20, 0xffffff88, v2
	v_or_b32_e32 v6, 0x800000, v6
	s_and_saveexec_b64 s[4:5], s[14:15]
	s_xor_b64 s[16:17], exec, s[4:5]
	s_cbranch_execz .LBB1_3
; %bb.2:                                ;   in Loop: Header=BB1_1 Depth=1
	v_cmp_lt_u32_e32 vcc, 63, v20
	s_nop 1
	v_cndmask_b32_e32 v2, 0, v12, vcc
	v_add_u32_e32 v2, v2, v20
	v_cmp_lt_u32_e64 s[4:5], 31, v2
	s_nop 1
	v_cndmask_b32_e64 v16, 0, v13, s[4:5]
	v_add_u32_e32 v2, v16, v2
	v_cmp_lt_u32_e64 s[6:7], 31, v2
	s_nop 1
	v_cndmask_b32_e64 v16, 0, v13, s[6:7]
	v_add_u32_e32 v21, v16, v2
	v_mad_u64_u32 v[16:17], s[8:9], v6, s19, 0
	v_mov_b32_e32 v2, v17
	v_mad_u64_u32 v[18:19], s[8:9], v6, s20, v[2:3]
	v_mov_b32_e32 v2, v19
	;; [unrolled: 2-line block ×6, first 2 shown]
	v_mad_u64_u32 v[32:33], s[8:9], v6, s25, v[2:3]
	v_cndmask_b32_e32 v17, v30, v26, vcc
	v_cndmask_b32_e32 v2, v32, v28, vcc
	v_cndmask_b32_e32 v23, v33, v30, vcc
	v_cndmask_b32_e64 v19, v2, v17, s[4:5]
	v_cndmask_b32_e64 v2, v23, v2, s[4:5]
	v_cndmask_b32_e32 v23, v28, v22, vcc
	v_cndmask_b32_e64 v17, v17, v23, s[4:5]
	v_cndmask_b32_e32 v18, v26, v18, vcc
	v_cndmask_b32_e64 v2, v2, v19, s[6:7]
	v_cndmask_b32_e64 v19, v19, v17, s[6:7]
	v_sub_u32_e32 v27, 32, v21
	v_cmp_eq_u32_e64 s[8:9], 0, v21
	v_cndmask_b32_e64 v21, v23, v18, s[4:5]
	v_alignbit_b32 v28, v2, v19, v27
	v_cndmask_b32_e64 v17, v17, v21, s[6:7]
	v_cndmask_b32_e32 v16, v22, v16, vcc
	v_cndmask_b32_e64 v2, v28, v2, s[8:9]
	v_alignbit_b32 v23, v19, v17, v27
	v_cndmask_b32_e64 v16, v18, v16, s[4:5]
	v_cndmask_b32_e64 v19, v23, v19, s[8:9]
	v_bfe_u32 v28, v2, 29, 1
	v_cndmask_b32_e64 v16, v21, v16, s[6:7]
	v_alignbit_b32 v23, v2, v19, 30
	v_sub_u32_e32 v29, 0, v28
	v_alignbit_b32 v18, v17, v16, v27
	v_xor_b32_e32 v30, v23, v29
	v_cndmask_b32_e64 v17, v18, v17, s[8:9]
	v_alignbit_b32 v18, v19, v17, 30
	v_ffbh_u32_e32 v19, v30
	v_add_u32_e32 v19, 1, v19
	v_cmp_ne_u32_e32 vcc, v23, v29
	v_alignbit_b32 v16, v17, v16, 30
	v_xor_b32_e32 v18, v18, v29
	v_cndmask_b32_e32 v19, 33, v19, vcc
	v_sub_u32_e32 v21, 32, v19
	v_xor_b32_e32 v16, v16, v29
	v_alignbit_b32 v22, v30, v18, v21
	v_alignbit_b32 v16, v18, v16, v21
	;; [unrolled: 1-line block ×3, first 2 shown]
	v_ffbh_u32_e32 v18, v17
	v_min_u32_e32 v18, 32, v18
	v_lshrrev_b32_e32 v26, 29, v2
	v_sub_u32_e32 v21, 31, v18
	v_alignbit_b32 v16, v17, v16, v21
	v_lshlrev_b32_e32 v17, 31, v26
	v_or_b32_e32 v21, 0x33800000, v17
	v_add_lshl_u32 v18, v18, v19, 23
	v_lshrrev_b32_e32 v16, 9, v16
	v_sub_u32_e32 v18, v21, v18
	v_or_b32_e32 v16, v18, v16
	v_alignbit_b32 v18, v19, v22, 9
	v_or_b32_e32 v17, v18, v17
	v_xor_b32_e32 v17, 1.0, v17
	v_mul_f32_e32 v18, 0x3fc90fda, v17
	v_fma_f32 v19, v17, s26, -v18
	v_fmac_f32_e32 v19, 0x33a22168, v17
	v_fmac_f32_e32 v19, 0x3fc90fda, v16
	v_lshrrev_b32_e32 v2, 30, v2
	v_add_f32_e32 v17, v18, v19
	v_add_u32_e32 v16, v28, v2
.LBB1_3:                                ;   in Loop: Header=BB1_1 Depth=1
	s_or_saveexec_b64 s[4:5], s[16:17]
	v_mul_f32_e64 v2, |v7|, s27
	v_rndne_f32_e32 v2, v2
	s_xor_b64 exec, exec, s[4:5]
; %bb.4:                                ;   in Loop: Header=BB1_1 Depth=1
	v_cvt_i32_f32_e32 v16, v2
	v_fma_f32 v17, v2, s28, |v7|
	v_fmac_f32_e32 v17, 0xb3a22168, v2
	v_fmac_f32_e32 v17, 0xa7c234c4, v2
; %bb.5:                                ;   in Loop: Header=BB1_1 Depth=1
	s_or_b64 exec, exec, s[4:5]
                                        ; implicit-def: $vgpr18
                                        ; implicit-def: $vgpr19
	s_and_saveexec_b64 s[4:5], s[14:15]
	s_xor_b64 s[14:15], exec, s[4:5]
	s_cbranch_execz .LBB1_7
; %bb.6:                                ;   in Loop: Header=BB1_1 Depth=1
	v_cmp_lt_u32_e32 vcc, 63, v20
	s_nop 1
	v_cndmask_b32_e32 v2, 0, v12, vcc
	v_add_u32_e32 v2, v2, v20
	v_cmp_lt_u32_e64 s[4:5], 31, v2
	s_nop 1
	v_cndmask_b32_e64 v18, 0, v13, s[4:5]
	v_add_u32_e32 v2, v18, v2
	v_cmp_lt_u32_e64 s[6:7], 31, v2
	s_nop 1
	v_cndmask_b32_e64 v18, 0, v13, s[6:7]
	v_add_u32_e32 v34, v18, v2
	v_mad_u64_u32 v[18:19], s[8:9], v6, s19, 0
	v_mov_b32_e32 v2, v19
	v_mad_u64_u32 v[20:21], s[8:9], v6, s20, v[2:3]
	v_mov_b32_e32 v2, v21
	;; [unrolled: 2-line block ×6, first 2 shown]
	v_mad_u64_u32 v[32:33], s[8:9], v6, s25, v[2:3]
	v_cndmask_b32_e32 v19, v30, v26, vcc
	v_cndmask_b32_e32 v2, v32, v28, vcc
	;; [unrolled: 1-line block ×3, first 2 shown]
	v_cndmask_b32_e64 v6, v2, v19, s[4:5]
	v_cndmask_b32_e64 v2, v21, v2, s[4:5]
	v_cndmask_b32_e32 v21, v28, v22, vcc
	v_cndmask_b32_e64 v19, v19, v21, s[4:5]
	v_cndmask_b32_e32 v20, v26, v20, vcc
	v_cndmask_b32_e64 v2, v2, v6, s[6:7]
	v_cndmask_b32_e64 v6, v6, v19, s[6:7]
	v_sub_u32_e32 v23, 32, v34
	v_cndmask_b32_e64 v21, v21, v20, s[4:5]
	v_alignbit_b32 v27, v2, v6, v23
	v_cmp_eq_u32_e64 s[8:9], 0, v34
	v_cndmask_b32_e64 v19, v19, v21, s[6:7]
	v_alignbit_b32 v26, v6, v19, v23
	v_cndmask_b32_e64 v2, v27, v2, s[8:9]
	v_cndmask_b32_e32 v18, v22, v18, vcc
	v_cndmask_b32_e64 v6, v26, v6, s[8:9]
	v_bfe_u32 v28, v2, 29, 1
	v_cndmask_b32_e64 v18, v20, v18, s[4:5]
	v_alignbit_b32 v26, v2, v6, 30
	v_sub_u32_e32 v29, 0, v28
	v_cndmask_b32_e64 v18, v21, v18, s[6:7]
	v_xor_b32_e32 v30, v26, v29
	v_alignbit_b32 v20, v19, v18, v23
	v_cndmask_b32_e64 v19, v20, v19, s[8:9]
	v_ffbh_u32_e32 v20, v30
	v_add_u32_e32 v20, 1, v20
	v_cmp_ne_u32_e32 vcc, v26, v29
	v_alignbit_b32 v6, v6, v19, 30
	v_alignbit_b32 v18, v19, v18, 30
	v_cndmask_b32_e32 v20, 33, v20, vcc
	v_xor_b32_e32 v6, v6, v29
	v_sub_u32_e32 v21, 32, v20
	v_xor_b32_e32 v18, v18, v29
	v_alignbit_b32 v22, v30, v6, v21
	v_alignbit_b32 v6, v6, v18, v21
	v_alignbit_b32 v18, v22, v6, 9
	v_ffbh_u32_e32 v19, v18
	v_min_u32_e32 v19, 32, v19
	v_lshrrev_b32_e32 v27, 29, v2
	v_sub_u32_e32 v21, 31, v19
	v_alignbit_b32 v6, v18, v6, v21
	v_lshlrev_b32_e32 v18, 31, v27
	v_or_b32_e32 v21, 0x33800000, v18
	v_add_lshl_u32 v19, v19, v20, 23
	v_lshrrev_b32_e32 v6, 9, v6
	v_sub_u32_e32 v19, v21, v19
	v_or_b32_e32 v6, v19, v6
	v_alignbit_b32 v19, v20, v22, 9
	v_or_b32_e32 v18, v19, v18
	v_xor_b32_e32 v18, 1.0, v18
	v_mul_f32_e32 v19, 0x3fc90fda, v18
	v_fma_f32 v20, v18, s26, -v19
	v_fmac_f32_e32 v20, 0x33a22168, v18
	v_fmac_f32_e32 v20, 0x3fc90fda, v6
	v_lshrrev_b32_e32 v2, 30, v2
	v_add_f32_e32 v19, v19, v20
	v_add_u32_e32 v18, v28, v2
                                        ; implicit-def: $vgpr2
	s_andn2_saveexec_b64 s[4:5], s[14:15]
	s_cbranch_execnz .LBB1_8
	s_branch .LBB1_9
.LBB1_7:                                ;   in Loop: Header=BB1_1 Depth=1
	s_andn2_saveexec_b64 s[4:5], s[14:15]
.LBB1_8:                                ;   in Loop: Header=BB1_1 Depth=1
	v_cvt_i32_f32_e32 v18, v2
	v_fma_f32 v19, v2, s28, |v7|
	v_fmac_f32_e32 v19, 0xb3a22168, v2
	v_fmac_f32_e32 v19, 0xa7c234c4, v2
.LBB1_9:                                ;   in Loop: Header=BB1_1 Depth=1
	s_or_b64 exec, exec, s[4:5]
	v_lshl_add_u64 v[20:21], v[4:5], 2, s[42:43]
	global_load_dword v20, v[20:21], off
                                        ; implicit-def: $vgpr22
                                        ; implicit-def: $vgpr23
	s_waitcnt vmcnt(0)
	v_and_b32_e32 v21, 0x7fffffff, v20
	v_lshrrev_b32_e32 v2, 23, v21
	v_and_b32_e32 v6, 0x7fffff, v21
	v_cmp_nlt_f32_e64 s[14:15], |v20|, s18
	v_add_u32_e32 v28, 0xffffff88, v2
	v_or_b32_e32 v27, 0x800000, v6
	s_and_saveexec_b64 s[4:5], s[14:15]
	s_xor_b64 s[16:17], exec, s[4:5]
	s_cbranch_execz .LBB1_11
; %bb.10:                               ;   in Loop: Header=BB1_1 Depth=1
	v_cmp_lt_u32_e32 vcc, 63, v28
	v_mad_u64_u32 v[22:23], s[8:9], v27, s19, 0
	s_nop 0
	v_cndmask_b32_e32 v2, 0, v12, vcc
	v_add_u32_e32 v2, v2, v28
	v_cmp_lt_u32_e64 s[4:5], 31, v2
	s_nop 1
	v_cndmask_b32_e64 v6, 0, v13, s[4:5]
	v_add_u32_e32 v2, v6, v2
	v_cmp_lt_u32_e64 s[6:7], 31, v2
	s_nop 1
	v_cndmask_b32_e64 v6, 0, v13, s[6:7]
	v_add_u32_e32 v6, v6, v2
	v_mov_b32_e32 v2, v23
	v_mad_u64_u32 v[30:31], s[8:9], v27, s20, v[2:3]
	v_mov_b32_e32 v2, v31
	v_mad_u64_u32 v[32:33], s[8:9], v27, s21, v[2:3]
	;; [unrolled: 2-line block ×6, first 2 shown]
	v_cndmask_b32_e32 v23, v40, v34, vcc
	v_cndmask_b32_e32 v2, v42, v36, vcc
	;; [unrolled: 1-line block ×3, first 2 shown]
	v_cndmask_b32_e64 v26, v2, v23, s[4:5]
	v_cndmask_b32_e64 v2, v29, v2, s[4:5]
	v_cndmask_b32_e32 v29, v36, v32, vcc
	v_cndmask_b32_e64 v23, v23, v29, s[4:5]
	v_sub_u32_e32 v31, 32, v6
	v_cmp_eq_u32_e64 s[8:9], 0, v6
	v_cndmask_b32_e32 v6, v34, v30, vcc
	v_cndmask_b32_e64 v2, v2, v26, s[6:7]
	v_cndmask_b32_e64 v26, v26, v23, s[6:7]
	v_cndmask_b32_e64 v29, v29, v6, s[4:5]
	v_alignbit_b32 v33, v2, v26, v31
	v_cndmask_b32_e64 v23, v23, v29, s[6:7]
	v_cndmask_b32_e32 v22, v32, v22, vcc
	v_cndmask_b32_e64 v2, v33, v2, s[8:9]
	v_alignbit_b32 v30, v26, v23, v31
	v_cndmask_b32_e64 v6, v6, v22, s[4:5]
	v_cndmask_b32_e64 v26, v30, v26, s[8:9]
	v_bfe_u32 v34, v2, 29, 1
	v_cndmask_b32_e64 v6, v29, v6, s[6:7]
	v_alignbit_b32 v30, v2, v26, 30
	v_sub_u32_e32 v35, 0, v34
	v_alignbit_b32 v22, v23, v6, v31
	v_xor_b32_e32 v36, v30, v35
	v_cndmask_b32_e64 v22, v22, v23, s[8:9]
	v_alignbit_b32 v23, v26, v22, 30
	v_ffbh_u32_e32 v26, v36
	v_add_u32_e32 v26, 1, v26
	v_cmp_ne_u32_e32 vcc, v30, v35
	v_alignbit_b32 v6, v22, v6, 30
	v_xor_b32_e32 v23, v23, v35
	v_cndmask_b32_e32 v26, 33, v26, vcc
	v_sub_u32_e32 v29, 32, v26
	v_xor_b32_e32 v6, v6, v35
	v_alignbit_b32 v30, v36, v23, v29
	v_alignbit_b32 v6, v23, v6, v29
	;; [unrolled: 1-line block ×3, first 2 shown]
	v_ffbh_u32_e32 v23, v22
	v_min_u32_e32 v23, 32, v23
	v_lshrrev_b32_e32 v33, 29, v2
	v_sub_u32_e32 v29, 31, v23
	v_alignbit_b32 v6, v22, v6, v29
	v_lshlrev_b32_e32 v22, 31, v33
	v_or_b32_e32 v29, 0x33800000, v22
	v_add_lshl_u32 v23, v23, v26, 23
	v_lshrrev_b32_e32 v6, 9, v6
	v_sub_u32_e32 v23, v29, v23
	v_or_b32_e32 v6, v23, v6
	v_alignbit_b32 v23, v26, v30, 9
	v_or_b32_e32 v22, v23, v22
	v_xor_b32_e32 v22, 1.0, v22
	v_mul_f32_e32 v23, 0x3fc90fda, v22
	v_fma_f32 v26, v22, s26, -v23
	v_fmac_f32_e32 v26, 0x33a22168, v22
	v_fmac_f32_e32 v26, 0x3fc90fda, v6
	v_lshrrev_b32_e32 v2, 30, v2
	v_add_f32_e32 v23, v23, v26
	v_add_u32_e32 v22, v34, v2
.LBB1_11:                               ;   in Loop: Header=BB1_1 Depth=1
	s_or_saveexec_b64 s[4:5], s[16:17]
	v_mul_f32_e64 v2, |v20|, s27
	v_rndne_f32_e32 v2, v2
	s_xor_b64 exec, exec, s[4:5]
; %bb.12:                               ;   in Loop: Header=BB1_1 Depth=1
	v_cvt_i32_f32_e32 v22, v2
	v_fma_f32 v23, v2, s28, |v20|
	v_fmac_f32_e32 v23, 0xb3a22168, v2
	v_fmac_f32_e32 v23, 0xa7c234c4, v2
; %bb.13:                               ;   in Loop: Header=BB1_1 Depth=1
	s_or_b64 exec, exec, s[4:5]
                                        ; implicit-def: $vgpr6
                                        ; implicit-def: $vgpr26
	s_and_saveexec_b64 s[4:5], s[14:15]
	s_xor_b64 s[14:15], exec, s[4:5]
	s_cbranch_execz .LBB1_15
; %bb.14:                               ;   in Loop: Header=BB1_1 Depth=1
	v_cmp_lt_u32_e32 vcc, 63, v28
	s_nop 1
	v_cndmask_b32_e32 v2, 0, v12, vcc
	v_add_u32_e32 v2, v2, v28
	v_cmp_lt_u32_e64 s[4:5], 31, v2
	v_mad_u64_u32 v[28:29], s[8:9], v27, s19, 0
	s_nop 0
	v_cndmask_b32_e64 v6, 0, v13, s[4:5]
	v_add_u32_e32 v2, v6, v2
	v_cmp_lt_u32_e64 s[6:7], 31, v2
	s_nop 1
	v_cndmask_b32_e64 v6, 0, v13, s[6:7]
	v_add_u32_e32 v6, v6, v2
	v_mov_b32_e32 v2, v29
	v_mad_u64_u32 v[30:31], s[8:9], v27, s20, v[2:3]
	v_mov_b32_e32 v2, v31
	v_mad_u64_u32 v[32:33], s[8:9], v27, s21, v[2:3]
	;; [unrolled: 2-line block ×6, first 2 shown]
	v_cndmask_b32_e32 v29, v40, v34, vcc
	v_cndmask_b32_e32 v2, v26, v36, vcc
	;; [unrolled: 1-line block ×3, first 2 shown]
	v_cndmask_b32_e64 v26, v2, v29, s[4:5]
	v_cndmask_b32_e64 v2, v27, v2, s[4:5]
	v_cndmask_b32_e32 v27, v36, v32, vcc
	v_cndmask_b32_e64 v29, v29, v27, s[4:5]
	v_sub_u32_e32 v31, 32, v6
	v_cmp_eq_u32_e64 s[8:9], 0, v6
	v_cndmask_b32_e32 v6, v34, v30, vcc
	v_cndmask_b32_e64 v2, v2, v26, s[6:7]
	v_cndmask_b32_e64 v26, v26, v29, s[6:7]
	;; [unrolled: 1-line block ×3, first 2 shown]
	v_alignbit_b32 v33, v2, v26, v31
	v_cndmask_b32_e64 v29, v29, v27, s[6:7]
	v_cndmask_b32_e64 v2, v33, v2, s[8:9]
	v_alignbit_b32 v30, v26, v29, v31
	v_cndmask_b32_e64 v26, v30, v26, s[8:9]
	v_bfe_u32 v34, v2, 29, 1
	v_cndmask_b32_e32 v28, v32, v28, vcc
	v_alignbit_b32 v30, v2, v26, 30
	v_sub_u32_e32 v35, 0, v34
	v_cndmask_b32_e64 v6, v6, v28, s[4:5]
	v_xor_b32_e32 v36, v30, v35
	v_cndmask_b32_e64 v6, v27, v6, s[6:7]
	v_alignbit_b32 v27, v29, v6, v31
	v_ffbh_u32_e32 v28, v36
	v_cndmask_b32_e64 v27, v27, v29, s[8:9]
	v_add_u32_e32 v28, 1, v28
	v_cmp_ne_u32_e32 vcc, v30, v35
	v_alignbit_b32 v26, v26, v27, 30
	v_alignbit_b32 v6, v27, v6, 30
	v_cndmask_b32_e32 v28, 33, v28, vcc
	v_xor_b32_e32 v26, v26, v35
	v_sub_u32_e32 v29, 32, v28
	v_xor_b32_e32 v6, v6, v35
	v_alignbit_b32 v30, v36, v26, v29
	v_alignbit_b32 v6, v26, v6, v29
	;; [unrolled: 1-line block ×3, first 2 shown]
	v_ffbh_u32_e32 v27, v26
	v_min_u32_e32 v27, 32, v27
	v_lshrrev_b32_e32 v33, 29, v2
	v_sub_u32_e32 v29, 31, v27
	v_alignbit_b32 v6, v26, v6, v29
	v_lshlrev_b32_e32 v26, 31, v33
	v_or_b32_e32 v29, 0x33800000, v26
	v_add_lshl_u32 v27, v27, v28, 23
	v_lshrrev_b32_e32 v6, 9, v6
	v_sub_u32_e32 v27, v29, v27
	v_or_b32_e32 v6, v27, v6
	v_alignbit_b32 v27, v28, v30, 9
	v_or_b32_e32 v26, v27, v26
	v_xor_b32_e32 v26, 1.0, v26
	v_mul_f32_e32 v27, 0x3fc90fda, v26
	v_fma_f32 v28, v26, s26, -v27
	v_fmac_f32_e32 v28, 0x33a22168, v26
	v_fmac_f32_e32 v28, 0x3fc90fda, v6
	v_lshrrev_b32_e32 v2, 30, v2
	v_add_f32_e32 v26, v27, v28
	v_add_u32_e32 v6, v34, v2
                                        ; implicit-def: $vgpr2
	s_andn2_saveexec_b64 s[4:5], s[14:15]
	s_cbranch_execnz .LBB1_16
	s_branch .LBB1_17
.LBB1_15:                               ;   in Loop: Header=BB1_1 Depth=1
	s_andn2_saveexec_b64 s[4:5], s[14:15]
.LBB1_16:                               ;   in Loop: Header=BB1_1 Depth=1
	v_cvt_i32_f32_e32 v6, v2
	v_fma_f32 v26, v2, s28, |v20|
	v_fmac_f32_e32 v26, 0xb3a22168, v2
	v_fmac_f32_e32 v26, 0xa7c234c4, v2
.LBB1_17:                               ;   in Loop: Header=BB1_1 Depth=1
	s_or_b64 exec, exec, s[4:5]
	v_lshl_add_u64 v[28:29], v[4:5], 2, s[44:45]
	global_load_dword v27, v[28:29], off
                                        ; implicit-def: $vgpr30
                                        ; implicit-def: $vgpr31
	s_waitcnt vmcnt(0)
	v_and_b32_e32 v28, 0x7fffffff, v27
	v_lshrrev_b32_e32 v2, 23, v28
	v_and_b32_e32 v29, 0x7fffff, v28
	v_cmp_nlt_f32_e64 s[14:15], |v27|, s18
	v_add_u32_e32 v33, 0xffffff88, v2
	v_or_b32_e32 v32, 0x800000, v29
	s_and_saveexec_b64 s[4:5], s[14:15]
	s_xor_b64 s[16:17], exec, s[4:5]
	s_cbranch_execz .LBB1_19
; %bb.18:                               ;   in Loop: Header=BB1_1 Depth=1
	v_cmp_lt_u32_e32 vcc, 63, v33
	v_mad_u64_u32 v[30:31], s[8:9], v32, s19, 0
	s_nop 0
	v_cndmask_b32_e32 v2, 0, v12, vcc
	v_add_u32_e32 v2, v2, v33
	v_cmp_lt_u32_e64 s[4:5], 31, v2
	s_nop 1
	v_cndmask_b32_e64 v29, 0, v13, s[4:5]
	v_add_u32_e32 v2, v29, v2
	v_cmp_lt_u32_e64 s[6:7], 31, v2
	s_nop 1
	v_cndmask_b32_e64 v29, 0, v13, s[6:7]
	v_add_u32_e32 v29, v29, v2
	v_mov_b32_e32 v2, v31
	v_mad_u64_u32 v[34:35], s[8:9], v32, s20, v[2:3]
	v_mov_b32_e32 v2, v35
	v_mad_u64_u32 v[36:37], s[8:9], v32, s21, v[2:3]
	;; [unrolled: 2-line block ×6, first 2 shown]
	v_cndmask_b32_e32 v31, v44, v40, vcc
	v_cndmask_b32_e32 v2, v46, v42, vcc
	;; [unrolled: 1-line block ×3, first 2 shown]
	v_cndmask_b32_e64 v35, v2, v31, s[4:5]
	v_cndmask_b32_e64 v2, v37, v2, s[4:5]
	v_cndmask_b32_e32 v37, v42, v36, vcc
	v_cndmask_b32_e64 v31, v31, v37, s[4:5]
	v_sub_u32_e32 v39, 32, v29
	v_cmp_eq_u32_e64 s[8:9], 0, v29
	v_cndmask_b32_e32 v29, v40, v34, vcc
	v_cndmask_b32_e64 v2, v2, v35, s[6:7]
	v_cndmask_b32_e64 v35, v35, v31, s[6:7]
	;; [unrolled: 1-line block ×3, first 2 shown]
	v_alignbit_b32 v41, v2, v35, v39
	v_cndmask_b32_e64 v31, v31, v34, s[6:7]
	v_cndmask_b32_e64 v2, v41, v2, s[8:9]
	v_alignbit_b32 v37, v35, v31, v39
	v_cndmask_b32_e64 v35, v37, v35, s[8:9]
	v_bfe_u32 v41, v2, 29, 1
	v_cndmask_b32_e32 v30, v36, v30, vcc
	v_alignbit_b32 v37, v2, v35, 30
	v_sub_u32_e32 v42, 0, v41
	v_cndmask_b32_e64 v29, v29, v30, s[4:5]
	v_xor_b32_e32 v43, v37, v42
	v_cndmask_b32_e64 v29, v34, v29, s[6:7]
	v_alignbit_b32 v30, v31, v29, v39
	v_ffbh_u32_e32 v34, v43
	v_cndmask_b32_e64 v30, v30, v31, s[8:9]
	v_add_u32_e32 v34, 1, v34
	v_cmp_ne_u32_e32 vcc, v37, v42
	v_alignbit_b32 v31, v35, v30, 30
	v_alignbit_b32 v29, v30, v29, 30
	v_cndmask_b32_e32 v34, 33, v34, vcc
	v_xor_b32_e32 v31, v31, v42
	v_sub_u32_e32 v35, 32, v34
	v_xor_b32_e32 v29, v29, v42
	v_alignbit_b32 v36, v43, v31, v35
	v_alignbit_b32 v29, v31, v29, v35
	;; [unrolled: 1-line block ×3, first 2 shown]
	v_ffbh_u32_e32 v31, v30
	v_min_u32_e32 v31, 32, v31
	v_lshrrev_b32_e32 v40, 29, v2
	v_sub_u32_e32 v35, 31, v31
	v_alignbit_b32 v29, v30, v29, v35
	v_lshlrev_b32_e32 v30, 31, v40
	v_or_b32_e32 v35, 0x33800000, v30
	v_add_lshl_u32 v31, v31, v34, 23
	v_lshrrev_b32_e32 v29, 9, v29
	v_sub_u32_e32 v31, v35, v31
	v_or_b32_e32 v29, v31, v29
	v_alignbit_b32 v31, v34, v36, 9
	v_or_b32_e32 v30, v31, v30
	v_xor_b32_e32 v30, 1.0, v30
	v_mul_f32_e32 v31, 0x3fc90fda, v30
	v_fma_f32 v34, v30, s26, -v31
	v_fmac_f32_e32 v34, 0x33a22168, v30
	v_fmac_f32_e32 v34, 0x3fc90fda, v29
	v_lshrrev_b32_e32 v2, 30, v2
	v_add_f32_e32 v31, v31, v34
	v_add_u32_e32 v30, v41, v2
.LBB1_19:                               ;   in Loop: Header=BB1_1 Depth=1
	s_or_saveexec_b64 s[4:5], s[16:17]
	v_mul_f32_e64 v2, |v27|, s27
	v_rndne_f32_e32 v34, v2
	s_xor_b64 exec, exec, s[4:5]
; %bb.20:                               ;   in Loop: Header=BB1_1 Depth=1
	v_cvt_i32_f32_e32 v30, v34
	v_fma_f32 v31, v34, s28, |v27|
	v_fmac_f32_e32 v31, 0xb3a22168, v34
	v_fmac_f32_e32 v31, 0xa7c234c4, v34
; %bb.21:                               ;   in Loop: Header=BB1_1 Depth=1
	s_or_b64 exec, exec, s[4:5]
                                        ; implicit-def: $vgpr2
                                        ; implicit-def: $vgpr29
	s_and_saveexec_b64 s[4:5], s[14:15]
	s_xor_b64 s[14:15], exec, s[4:5]
	s_cbranch_execz .LBB1_23
; %bb.22:                               ;   in Loop: Header=BB1_1 Depth=1
	v_cmp_lt_u32_e32 vcc, 63, v33
	v_mad_u64_u32 v[34:35], s[8:9], v32, s19, 0
	s_nop 0
	v_cndmask_b32_e32 v2, 0, v12, vcc
	v_add_u32_e32 v2, v2, v33
	v_cmp_lt_u32_e64 s[4:5], 31, v2
	s_nop 1
	v_cndmask_b32_e64 v29, 0, v13, s[4:5]
	v_add_u32_e32 v2, v29, v2
	v_cmp_lt_u32_e64 s[6:7], 31, v2
	s_nop 1
	v_cndmask_b32_e64 v29, 0, v13, s[6:7]
	v_add_u32_e32 v29, v29, v2
	v_mov_b32_e32 v2, v35
	v_mad_u64_u32 v[36:37], s[8:9], v32, s20, v[2:3]
	v_mov_b32_e32 v2, v37
	v_mad_u64_u32 v[40:41], s[8:9], v32, s21, v[2:3]
	;; [unrolled: 2-line block ×6, first 2 shown]
	v_cndmask_b32_e32 v35, v46, v42, vcc
	v_cndmask_b32_e32 v2, v32, v44, vcc
	;; [unrolled: 1-line block ×3, first 2 shown]
	v_cndmask_b32_e64 v32, v2, v35, s[4:5]
	v_cndmask_b32_e64 v2, v33, v2, s[4:5]
	v_cndmask_b32_e32 v33, v44, v40, vcc
	v_cndmask_b32_e64 v35, v35, v33, s[4:5]
	v_sub_u32_e32 v37, 32, v29
	v_cmp_eq_u32_e64 s[8:9], 0, v29
	v_cndmask_b32_e32 v29, v42, v36, vcc
	v_cndmask_b32_e64 v2, v2, v32, s[6:7]
	v_cndmask_b32_e64 v32, v32, v35, s[6:7]
	;; [unrolled: 1-line block ×3, first 2 shown]
	v_alignbit_b32 v39, v2, v32, v37
	v_cndmask_b32_e64 v35, v35, v33, s[6:7]
	v_cndmask_b32_e64 v2, v39, v2, s[8:9]
	v_alignbit_b32 v36, v32, v35, v37
	v_cndmask_b32_e64 v32, v36, v32, s[8:9]
	v_bfe_u32 v41, v2, 29, 1
	v_cndmask_b32_e32 v34, v40, v34, vcc
	v_alignbit_b32 v36, v2, v32, 30
	v_sub_u32_e32 v42, 0, v41
	v_cndmask_b32_e64 v29, v29, v34, s[4:5]
	v_xor_b32_e32 v43, v36, v42
	v_cndmask_b32_e64 v29, v33, v29, s[6:7]
	v_alignbit_b32 v33, v35, v29, v37
	v_ffbh_u32_e32 v34, v43
	v_cndmask_b32_e64 v33, v33, v35, s[8:9]
	v_add_u32_e32 v34, 1, v34
	v_cmp_ne_u32_e32 vcc, v36, v42
	v_alignbit_b32 v32, v32, v33, 30
	v_alignbit_b32 v29, v33, v29, 30
	v_cndmask_b32_e32 v34, 33, v34, vcc
	v_xor_b32_e32 v32, v32, v42
	v_sub_u32_e32 v35, 32, v34
	v_xor_b32_e32 v29, v29, v42
	v_alignbit_b32 v36, v43, v32, v35
	v_alignbit_b32 v29, v32, v29, v35
	;; [unrolled: 1-line block ×3, first 2 shown]
	v_ffbh_u32_e32 v33, v32
	v_min_u32_e32 v33, 32, v33
	v_lshrrev_b32_e32 v39, 29, v2
	v_sub_u32_e32 v35, 31, v33
	v_alignbit_b32 v29, v32, v29, v35
	v_lshlrev_b32_e32 v32, 31, v39
	v_or_b32_e32 v35, 0x33800000, v32
	v_add_lshl_u32 v33, v33, v34, 23
	v_lshrrev_b32_e32 v29, 9, v29
	v_sub_u32_e32 v33, v35, v33
	v_or_b32_e32 v29, v33, v29
	v_alignbit_b32 v33, v34, v36, 9
	v_or_b32_e32 v32, v33, v32
	v_xor_b32_e32 v32, 1.0, v32
	v_mul_f32_e32 v33, 0x3fc90fda, v32
	v_fma_f32 v34, v32, s26, -v33
	v_fmac_f32_e32 v34, 0x33a22168, v32
	v_fmac_f32_e32 v34, 0x3fc90fda, v29
	v_lshrrev_b32_e32 v2, 30, v2
	v_add_f32_e32 v29, v33, v34
	v_add_u32_e32 v2, v41, v2
                                        ; implicit-def: $vgpr34
	s_andn2_saveexec_b64 s[4:5], s[14:15]
	s_cbranch_execnz .LBB1_24
	s_branch .LBB1_25
.LBB1_23:                               ;   in Loop: Header=BB1_1 Depth=1
	s_andn2_saveexec_b64 s[4:5], s[14:15]
.LBB1_24:                               ;   in Loop: Header=BB1_1 Depth=1
	v_cvt_i32_f32_e32 v2, v34
	v_fma_f32 v29, v34, s28, |v27|
	v_fmac_f32_e32 v29, 0xb3a22168, v34
	v_fmac_f32_e32 v29, 0xa7c234c4, v34
.LBB1_25:                               ;   in Loop: Header=BB1_1 Depth=1
	s_or_b64 exec, exec, s[4:5]
	v_mul_f32_e32 v32, v31, v31
	v_fmamk_f32 v33, v32, 0xb94c1982, v9
	v_fmaak_f32 v33, v32, v33, 0xbe2aaa9d
	v_mul_f32_e32 v33, v32, v33
	v_fmac_f32_e32 v31, v31, v33
	v_fmamk_f32 v33, v32, 0x37d75334, v11
	v_fmaak_f32 v33, v32, v33, 0x3d2aabf7
	v_fmaak_f32 v33, v32, v33, 0xbf000004
	v_fma_f32 v32, v32, v33, 1.0
	v_and_b32_e32 v33, 1, v30
	v_lshlrev_b32_e32 v30, 30, v30
	v_cmp_eq_u32_e32 vcc, 0, v33
	v_and_b32_e32 v30, 0x80000000, v30
	v_xor_b32_e32 v28, v28, v27
	v_cndmask_b32_e32 v31, v32, v31, vcc
	v_xor_b32_e32 v28, v28, v30
	v_xor_b32_e32 v28, v28, v31
	v_cmp_class_f32_e64 vcc, v27, s29
	v_mul_f32_e32 v27, v26, v26
	v_lshlrev_b64 v[4:5], 2, v[4:5]
	v_cndmask_b32_e32 v34, v14, v28, vcc
	v_fmamk_f32 v28, v27, 0xb94c1982, v9
	v_fmaak_f32 v28, v27, v28, 0xbe2aaa9d
	v_mul_f32_e32 v28, v27, v28
	v_fmac_f32_e32 v26, v26, v28
	v_fmamk_f32 v28, v27, 0x37d75334, v11
	v_fmaak_f32 v28, v27, v28, 0x3d2aabf7
	v_fmaak_f32 v28, v27, v28, 0xbf000004
	v_fma_f32 v27, v27, v28, 1.0
	v_and_b32_e32 v28, 1, v6
	v_cmp_eq_u32_e64 s[4:5], 0, v28
	v_lshlrev_b32_e32 v6, 30, v6
	v_and_b32_e32 v6, 0x80000000, v6
	v_cndmask_b32_e64 v26, -v26, v27, s[4:5]
	v_mul_f32_e32 v28, v23, v23
	v_xor_b32_e32 v6, v6, v26
	v_fmamk_f32 v30, v28, 0xb94c1982, v9
	v_lshl_add_u64 v[26:27], s[46:47], 0, v[4:5]
	global_load_dword v31, v[26:27], off
	v_fmaak_f32 v26, v28, v30, 0xbe2aaa9d
	v_mul_f32_e32 v26, v28, v26
	v_fmac_f32_e32 v23, v23, v26
	v_fmamk_f32 v26, v28, 0x37d75334, v11
	v_fmaak_f32 v30, v28, v26, 0x3d2aabf7
	v_lshl_add_u64 v[26:27], s[48:49], 0, v[4:5]
	global_load_dword v33, v[26:27], off
	v_lshl_add_u64 v[4:5], s[50:51], 0, v[4:5]
	global_load_dword v35, v[4:5], off
	v_fmaak_f32 v26, v28, v30, 0xbf000004
	v_and_b32_e32 v27, 1, v22
	v_lshlrev_b32_e32 v5, 30, v22
	v_cmp_class_f32_e64 s[4:5], v20, s29
	v_fma_f32 v26, v28, v26, 1.0
	v_cmp_eq_u32_e64 s[6:7], 0, v27
	v_and_b32_e32 v5, 0x80000000, v5
	v_xor_b32_e32 v20, v21, v20
	v_cndmask_b32_e64 v4, v26, v23, s[6:7]
	v_xor_b32_e32 v5, v20, v5
	v_xor_b32_e32 v4, v5, v4
	v_cndmask_b32_e64 v20, v14, v4, s[4:5]
	v_mul_f32_e32 v4, v19, v19
	v_fmamk_f32 v5, v4, 0xb94c1982, v9
	v_fmaak_f32 v5, v4, v5, 0xbe2aaa9d
	v_mul_f32_e32 v5, v4, v5
	v_fmac_f32_e32 v19, v19, v5
	v_fmamk_f32 v5, v4, 0x37d75334, v11
	v_fmaak_f32 v5, v4, v5, 0x3d2aabf7
	v_fmaak_f32 v5, v4, v5, 0xbf000004
	v_fma_f32 v4, v4, v5, 1.0
	v_and_b32_e32 v5, 1, v18
	v_cndmask_b32_e64 v6, v14, v6, s[4:5]
	v_cmp_eq_u32_e64 s[4:5], 0, v5
	v_lshlrev_b32_e32 v5, 30, v18
	v_and_b32_e32 v5, 0x80000000, v5
	v_cndmask_b32_e64 v4, -v19, v4, s[4:5]
	v_xor_b32_e32 v4, v5, v4
	v_cmp_class_f32_e64 s[4:5], v7, s29
	v_xor_b32_e32 v7, v15, v7
	s_xor_b64 s[8:9], s[12:13], -1
	v_cndmask_b32_e64 v5, v14, v4, s[4:5]
	v_mul_f32_e32 v4, v17, v17
	v_fmamk_f32 v18, v4, 0xb94c1982, v9
	v_fmaak_f32 v18, v4, v18, 0xbe2aaa9d
	v_mul_f32_e32 v18, v4, v18
	v_fmac_f32_e32 v17, v17, v18
	v_fmamk_f32 v18, v4, 0x37d75334, v11
	v_fmaak_f32 v18, v4, v18, 0x3d2aabf7
	v_fmaak_f32 v18, v4, v18, 0xbf000004
	v_fma_f32 v4, v4, v18, 1.0
	v_and_b32_e32 v18, 1, v16
	v_lshlrev_b32_e32 v16, 30, v16
	v_cmp_eq_u32_e64 s[6:7], 0, v18
	v_and_b32_e32 v16, 0x80000000, v16
	v_xor_b32_e32 v7, v7, v16
	v_cndmask_b32_e64 v4, v4, v17, s[6:7]
	v_xor_b32_e32 v4, v7, v4
	v_mul_f32_e32 v7, v29, v29
	v_fmamk_f32 v15, v7, 0xb94c1982, v9
	v_fmaak_f32 v15, v7, v15, 0xbe2aaa9d
	v_mul_f32_e32 v15, v7, v15
	v_fmac_f32_e32 v29, v29, v15
	v_fmamk_f32 v15, v7, 0x37d75334, v11
	v_fmaak_f32 v15, v7, v15, 0x3d2aabf7
	v_fmaak_f32 v15, v7, v15, 0xbf000004
	v_fma_f32 v7, v7, v15, 1.0
	v_and_b32_e32 v15, 1, v2
	v_cndmask_b32_e64 v4, v14, v4, s[4:5]
	v_cmp_eq_u32_e64 s[4:5], 0, v15
	v_lshlrev_b32_e32 v2, 30, v2
	v_and_b32_e32 v2, 0x80000000, v2
	v_cndmask_b32_e64 v7, -v29, v7, s[4:5]
	v_xor_b32_e32 v2, v2, v7
	v_cndmask_b32_e32 v16, v14, v2, vcc
	v_mul_f32_e32 v2, v4, v20
	v_mul_f32_e32 v7, v2, v16
	;; [unrolled: 1-line block ×3, first 2 shown]
	v_pk_add_f32 v[28:29], v[6:7], v[16:17] neg_lo:[0,1] neg_hi:[0,1]
	v_mul_f32_e32 v17, v5, v20
	v_mul_f32_e32 v30, v17, v16
	v_fmac_f32_e32 v30, v4, v34
	v_mul_f32_e32 v28, v6, v16
	v_mul_f32_e32 v7, v2, v34
	;; [unrolled: 1-line block ×3, first 2 shown]
	s_cmp_lg_u32 s30, 0
	s_waitcnt vmcnt(2)
	scratch_store_dwordx4 v10, v[28:31], off
	v_mul_f32_e32 v2, v4, v16
	s_cselect_b64 vcc, -1, 0
	v_pk_add_f32 v[30:31], v[6:7], v[14:15]
	s_cmp_lg_u32 s30, 1
	v_fma_f32 v32, v17, v34, -v2
	v_mul_f32_e32 v30, v6, v34
	v_pk_mul_f32 v[4:5], v[4:5], v[6:7] op_sel_hi:[1,0]
	v_cndmask_b32_e32 v25, 0, v25, vcc
	s_cselect_b64 vcc, -1, 0
	s_waitcnt vmcnt(2)
	scratch_store_dwordx4 v10, v[30:33], off offset:16
	v_mov_b32_e32 v34, v5
	v_cndmask_b32_e32 v38, 0, v38, vcc
	v_xor_b32_e32 v32, 0x80000000, v20
	v_mov_b32_e32 v33, v4
	s_andn2_b64 vcc, exec, s[8:9]
	s_mov_b64 s[12:13], 0
	s_waitcnt vmcnt(2)
	scratch_store_dwordx4 v10, v[32:35], off offset:32
	s_cbranch_vccz .LBB1_27
; %bb.26:                               ;   in Loop: Header=BB1_1 Depth=1
	v_mov_b32_e32 v10, v8
	s_mov_b32 s30, 1
	s_branch .LBB1_1
.LBB1_27:
	scratch_load_dwordx4 v[0:3], off, off
	scratch_load_dwordx4 v[4:7], off, off offset:16
	scratch_load_dwordx4 v[16:19], off, off offset:60
	scratch_load_dwordx4 v[8:11], off, off offset:76
	scratch_load_dwordx4 v[12:15], off, off offset:32
	scratch_load_dwordx2 v[26:27], off, off offset:48
	scratch_load_dwordx2 v[28:29], off, off offset:52
	;; [unrolled: 1-line block ×3, first 2 shown]
	scratch_load_dword v39, off, off offset:92
	s_load_dwordx2 s[4:5], s[0:1], 0x0
	s_load_dwordx4 s[24:27], s[0:1], 0x48
	s_mov_b32 s29, 0
	v_mov_b32_e32 v40, 0
	s_movk_i32 s40, 0x46
	s_waitcnt lgkmcnt(0)
	s_max_i32 s43, s5, 1
	s_max_i32 s44, s4, 1
	s_add_u32 s30, s36, 8
	s_movk_i32 s41, 0x45
	s_mov_b32 s42, 0xf800000
	v_mov_b32_e32 v41, 0x260
	v_mov_b32_e32 v42, 0x42980000
	s_addc_u32 s31, s37, 0
	s_mov_b32 s28, s29
	s_waitcnt vmcnt(6)
	v_mov_b32_e32 v32, v16
	s_waitcnt vmcnt(5)
	v_mov_b32_e32 v33, v8
	;; [unrolled: 2-line block ×5, first 2 shown]
.LBB1_28:                               ; =>This Loop Header: Depth=1
                                        ;     Child Loop BB1_29 Depth 2
	s_lshl_b64 s[0:1], s[28:29], 4
	s_add_u32 s0, s38, s0
	s_addc_u32 s1, s39, s1
	global_load_dwordx4 v[20:23], v40, s[0:1]
	s_mov_b32 s36, s43
	s_mov_b64 s[34:35], s[30:31]
	s_waitcnt vmcnt(0)
	v_ashrrev_i32_e32 v17, 31, v23
	v_mov_b32_e32 v16, v23
	v_lshlrev_b64 v[16:17], 4, v[16:17]
	v_lshl_add_u64 v[16:17], s[26:27], 0, v[16:17]
	global_load_dwordx4 v[16:19], v[16:17], off
	v_fma_f32 v8, v20, v0, v3
	v_fma_f32 v43, v20, v4, v7
	;; [unrolled: 1-line block ×3, first 2 shown]
	v_pk_fma_f32 v[34:35], v[20:21], v[26:27], v[32:33] op_sel_hi:[0,1,1]
	v_fma_f32 v45, v20, v9, v39
	v_fmac_f32_e32 v8, v21, v1
	v_fmac_f32_e32 v43, v21, v5
	;; [unrolled: 1-line block ×3, first 2 shown]
	v_pk_fma_f32 v[34:35], v[20:21], v[28:29], v[34:35] op_sel:[1,0,0]
	v_fmac_f32_e32 v45, v21, v10
	v_fmac_f32_e32 v8, v22, v2
	;; [unrolled: 1-line block ×4, first 2 shown]
	v_pk_fma_f32 v[34:35], v[22:23], v[30:31], v[34:35] op_sel_hi:[0,1,1]
	v_fmac_f32_e32 v45, v22, v11
	s_waitcnt vmcnt(0)
	v_cmp_eq_u32_e64 s[4:5], s40, v16
	v_cmp_eq_u32_e64 s[6:7], s41, v16
	v_cmp_gt_f32_e64 s[8:9], 0, v18
	v_mov_b32_e32 v16, 0x40b00000
	v_mov_b32_e32 v36, v19
	;; [unrolled: 1-line block ×3, first 2 shown]
	v_cmp_lt_f32_e64 s[0:1], 0, v18
	v_cndmask_b32_e64 v16, 1.0, v16, s[8:9]
	v_cndmask_b32_e64 v19, v19, 1.0, s[8:9]
.LBB1_29:                               ;   Parent Loop BB1_28 Depth=1
                                        ; =>  This Inner Loop Header: Depth=2
	global_load_dwordx4 v[20:23], v40, s[34:35] offset:-8
	v_mov_b32_e32 v37, 0x3e800000
	s_waitcnt vmcnt(0)
	v_ashrrev_i32_e32 v47, 31, v23
	v_mov_b32_e32 v46, v23
	v_sub_f32_e32 v48, v44, v22
	v_sub_f32_e32 v49, v45, v22
	;; [unrolled: 1-line block ×4, first 2 shown]
	v_pk_add_f32 v[20:21], v[34:35], v[20:21] neg_lo:[0,1] neg_hi:[0,1]
	v_lshlrev_b64 v[22:23], 4, v[46:47]
	v_pk_mul_f32 v[20:21], v[20:21], v[20:21]
	v_lshl_add_u64 v[22:23], s[26:27], 0, v[22:23]
	v_add_f32_e32 v47, v20, v21
	global_load_dwordx4 v[20:23], v[22:23], off
	v_mul_f32_e32 v46, v51, v51
	v_fmac_f32_e32 v46, v50, v50
	v_fmac_f32_e32 v46, v48, v48
	;; [unrolled: 1-line block ×3, first 2 shown]
	v_mul_f32_e32 v48, 0x4f800000, v46
	v_cmp_gt_f32_e64 s[10:11], s42, v46
	v_mul_f32_e32 v49, 0x4f800000, v47
	v_cmp_gt_f32_e32 vcc, s42, v47
	v_cndmask_b32_e64 v46, v46, v48, s[10:11]
	v_sqrt_f32_e32 v48, v46
	v_cndmask_b32_e32 v47, v47, v49, vcc
	v_sqrt_f32_e32 v49, v47
	v_add_u32_e32 v50, -1, v48
	v_add_u32_e32 v51, 1, v48
	v_add_u32_e32 v52, -1, v49
	v_fma_f32 v54, -v50, v48, v46
	v_add_u32_e32 v53, 1, v49
	v_fma_f32 v55, -v51, v48, v46
	v_fma_f32 v56, -v52, v49, v47
	v_cmp_ge_f32_e64 s[12:13], 0, v54
	v_fma_f32 v57, -v53, v49, v47
	v_cmp_lt_f32_e64 s[14:15], 0, v55
	v_cndmask_b32_e64 v48, v48, v50, s[12:13]
	v_cmp_ge_f32_e64 s[12:13], 0, v56
	v_cndmask_b32_e64 v48, v48, v51, s[14:15]
	v_mul_f32_e32 v50, 0x37800000, v48
	v_cndmask_b32_e64 v49, v49, v52, s[12:13]
	v_cmp_lt_f32_e64 s[12:13], 0, v57
	v_cndmask_b32_e64 v48, v48, v50, s[10:11]
	v_cmp_class_f32_e64 s[10:11], v46, v41
	v_cndmask_b32_e64 v49, v49, v53, s[12:13]
	v_mul_f32_e32 v51, 0x37800000, v49
	v_cndmask_b32_e32 v49, v49, v51, vcc
	v_cmp_class_f32_e32 vcc, v47, v41
	v_cndmask_b32_e64 v46, v48, v46, s[10:11]
	s_waitcnt vmcnt(0)
	v_add_f32_e32 v48, v17, v21
	v_cmp_lt_f32_e64 s[12:13], 0, v22
	v_cmp_gt_f32_e64 s[16:17], 0, v22
	v_cndmask_b32_e32 v47, v49, v47, vcc
	v_cmp_eq_u32_e32 vcc, s40, v20
	v_cmp_eq_u32_e64 s[10:11], s41, v20
	v_cndmask_b32_e64 v49, v19, v16, s[16:17]
	v_mov_b32_e32 v20, v23
	v_div_scale_f32 v23, s[18:19], v48, v48, 1.0
	s_and_b64 s[12:13], s[12:13], s[8:9]
	s_and_b64 vcc, vcc, s[4:5]
	v_cndmask_b32_e64 v51, v18, -v18, s[12:13]
	v_div_scale_f32 v52, s[12:13], v49, v49, 1.0
	v_rcp_f32_e32 v56, v23
	v_cndmask_b32_e64 v21, 2.0, 4.0, vcc
	s_and_b64 s[16:17], s[16:17], s[0:1]
	v_sub_f32_e32 v54, v46, v48
	v_sub_f32_e32 v55, v47, v48
	v_cndmask_b32_e32 v57, 0.5, v37, vcc
	v_rcp_f32_e32 v58, v52
	v_cmp_neq_f32_e64 s[14:15], 0, v22
	v_cndmask_b32_e64 v22, v22, -v22, s[16:17]
	v_cmp_gt_f32_e64 s[16:17], 0, v54
	v_cmp_lt_f32_e32 vcc, v54, v21
	v_cmp_gt_f32_e64 s[20:21], 0, v55
	v_cmp_lt_f32_e64 s[22:23], v55, v21
	v_fma_f32 v21, -v57, v54, 1.0
	v_fma_f32 v57, -v57, v55, 1.0
	v_cndmask_b32_e64 v37, 0, 1.0, s[22:23]
	v_cndmask_b32_e64 v63, v21, 1.0, s[16:17]
	;; [unrolled: 1-line block ×3, first 2 shown]
	v_cndmask_b32_e64 v59, 0, 1.0, vcc
	v_pk_mul_f32 v[20:21], v[36:37], v[20:21]
	v_fma_f32 v37, -v23, v56, 1.0
	v_div_scale_f32 v50, s[18:19], 1.0, v48, 1.0
	v_cmp_lt_f32_e32 vcc, v54, v49
	v_cmp_lt_f32_e64 s[22:23], v55, v49
	v_mul_f32_e32 v57, v59, v63
	v_fma_f32 v59, -v52, v58, 1.0
	v_fmac_f32_e32 v56, v37, v56
	v_div_scale_f32 v53, s[12:13], 1.0, v49, 1.0
	s_and_b64 s[46:47], s[14:15], vcc
	s_and_b64 s[14:15], s[14:15], s[22:23]
	v_mul_f32_e32 v57, v20, v57
	s_or_b64 s[10:11], s[10:11], s[6:7]
	v_fmac_f32_e32 v58, v59, v58
	v_mul_f32_e32 v37, v50, v56
	v_add_f32_e32 v22, v22, v51
	v_cndmask_b32_e64 v61, 0, 1.0, s[46:47]
	v_cndmask_b32_e64 v62, 0, 1.0, s[14:15]
	v_mul_f32_e32 v20, v20, v21
	v_cndmask_b32_e64 v21, v57, -|v57|, s[10:11]
	v_mul_f32_e32 v57, v53, v58
	v_fma_f32 v59, -v23, v37, v50
	v_mul_f32_e32 v61, v22, v61
	v_mul_f32_e32 v22, v22, v62
	v_fma_f32 v62, -v52, v57, v53
	v_fmac_f32_e32 v37, v59, v56
	v_fmac_f32_e32 v57, v62, v58
	v_fma_f32 v23, -v23, v37, v50
	s_mov_b64 vcc, s[18:19]
	v_fma_f32 v50, -v52, v57, v53
	v_div_fmas_f32 v23, v23, v56, v37
	s_mov_b64 vcc, s[12:13]
	v_div_fixup_f32 v23, v23, v48, 1.0
	v_div_fmas_f32 v37, v50, v58, v57
	v_cndmask_b32_e64 v51, 0, v42, s[16:17]
	v_cndmask_b32_e64 v60, 0, v42, s[20:21]
	v_div_fixup_f32 v37, v37, v49, 1.0
	v_fma_f32 v46, -v23, v46, 1.0
	v_fma_f32 v23, -v23, v47, 1.0
	v_cndmask_b32_e64 v20, v20, -|v20|, s[10:11]
	s_add_u32 s34, s34, 16
	v_fmac_f32_e32 v25, v46, v51
	v_fma_f32 v46, -v37, v54, 1.0
	v_fmac_f32_e32 v38, v23, v60
	v_fma_f32 v23, -v37, v55, 1.0
	s_addc_u32 s35, s35, 0
	s_add_i32 s36, s36, -1
	v_cndmask_b32_e64 v37, v46, 1.0, s[16:17]
	v_fmac_f32_e32 v25, 0x42340000, v21
	v_fmac_f32_e32 v38, 0x42340000, v20
	v_cndmask_b32_e64 v20, v23, 1.0, s[20:21]
	s_cmp_lg_u32 s36, 0
	v_fmac_f32_e32 v25, v37, v61
	v_fmac_f32_e32 v38, v20, v22
	s_cbranch_scc1 .LBB1_29
; %bb.30:                               ;   in Loop: Header=BB1_28 Depth=1
	s_add_i32 s28, s28, 1
	s_cmp_lg_u32 s28, s44
	s_cbranch_scc1 .LBB1_28
; %bb.31:
	s_and_saveexec_b64 s[0:1], s[2:3]
	s_cbranch_execz .LBB1_33
; %bb.32:
	v_mul_f32_e32 v2, 0.5, v25
	v_mov_b32_e32 v25, 0
	v_lshl_add_u64 v[0:1], v[24:25], 2, s[24:25]
	v_add_u32_e32 v24, s33, v24
	global_store_dword v[0:1], v2, off
	v_mul_f32_e32 v2, 0.5, v38
	v_lshl_add_u64 v[0:1], v[24:25], 2, s[24:25]
	global_store_dword v[0:1], v2, off
.LBB1_33:
	s_endpgm
	.section	.rodata,"a",@progbits
	.p2align	6, 0x0
	.amdhsa_kernel _ZL11fasten_mainILm2EEviiPK4AtomS2_PKfS4_S4_S4_S4_S4_PfPK8FFParamsi
		.amdhsa_group_segment_fixed_size 0
		.amdhsa_private_segment_fixed_size 112
		.amdhsa_kernarg_size 352
		.amdhsa_user_sgpr_count 2
		.amdhsa_user_sgpr_dispatch_ptr 0
		.amdhsa_user_sgpr_queue_ptr 0
		.amdhsa_user_sgpr_kernarg_segment_ptr 1
		.amdhsa_user_sgpr_dispatch_id 0
		.amdhsa_user_sgpr_kernarg_preload_length 0
		.amdhsa_user_sgpr_kernarg_preload_offset 0
		.amdhsa_user_sgpr_private_segment_size 0
		.amdhsa_uses_dynamic_stack 0
		.amdhsa_enable_private_segment 1
		.amdhsa_system_sgpr_workgroup_id_x 1
		.amdhsa_system_sgpr_workgroup_id_y 0
		.amdhsa_system_sgpr_workgroup_id_z 0
		.amdhsa_system_sgpr_workgroup_info 0
		.amdhsa_system_vgpr_workitem_id 0
		.amdhsa_next_free_vgpr 64
		.amdhsa_next_free_sgpr 52
		.amdhsa_accum_offset 64
		.amdhsa_reserve_vcc 1
		.amdhsa_float_round_mode_32 0
		.amdhsa_float_round_mode_16_64 0
		.amdhsa_float_denorm_mode_32 3
		.amdhsa_float_denorm_mode_16_64 3
		.amdhsa_dx10_clamp 1
		.amdhsa_ieee_mode 1
		.amdhsa_fp16_overflow 0
		.amdhsa_tg_split 0
		.amdhsa_exception_fp_ieee_invalid_op 0
		.amdhsa_exception_fp_denorm_src 0
		.amdhsa_exception_fp_ieee_div_zero 0
		.amdhsa_exception_fp_ieee_overflow 0
		.amdhsa_exception_fp_ieee_underflow 0
		.amdhsa_exception_fp_ieee_inexact 0
		.amdhsa_exception_int_div_zero 0
	.end_amdhsa_kernel
	.section	.text._ZL11fasten_mainILm2EEviiPK4AtomS2_PKfS4_S4_S4_S4_S4_PfPK8FFParamsi,"axG",@progbits,_ZL11fasten_mainILm2EEviiPK4AtomS2_PKfS4_S4_S4_S4_S4_PfPK8FFParamsi,comdat
.Lfunc_end1:
	.size	_ZL11fasten_mainILm2EEviiPK4AtomS2_PKfS4_S4_S4_S4_S4_PfPK8FFParamsi, .Lfunc_end1-_ZL11fasten_mainILm2EEviiPK4AtomS2_PKfS4_S4_S4_S4_S4_PfPK8FFParamsi
                                        ; -- End function
	.section	.AMDGPU.csdata,"",@progbits
; Kernel info:
; codeLenInByte = 6076
; NumSgprs: 58
; NumVgprs: 64
; NumAgprs: 0
; TotalNumVgprs: 64
; ScratchSize: 112
; MemoryBound: 0
; FloatMode: 240
; IeeeMode: 1
; LDSByteSize: 0 bytes/workgroup (compile time only)
; SGPRBlocks: 7
; VGPRBlocks: 7
; NumSGPRsForWavesPerEU: 58
; NumVGPRsForWavesPerEU: 64
; AccumOffset: 64
; Occupancy: 8
; WaveLimiterHint : 1
; COMPUTE_PGM_RSRC2:SCRATCH_EN: 1
; COMPUTE_PGM_RSRC2:USER_SGPR: 2
; COMPUTE_PGM_RSRC2:TRAP_HANDLER: 0
; COMPUTE_PGM_RSRC2:TGID_X_EN: 1
; COMPUTE_PGM_RSRC2:TGID_Y_EN: 0
; COMPUTE_PGM_RSRC2:TGID_Z_EN: 0
; COMPUTE_PGM_RSRC2:TIDIG_COMP_CNT: 0
; COMPUTE_PGM_RSRC3_GFX90A:ACCUM_OFFSET: 15
; COMPUTE_PGM_RSRC3_GFX90A:TG_SPLIT: 0
	.section	.text._ZL11fasten_mainILm4EEviiPK4AtomS2_PKfS4_S4_S4_S4_S4_PfPK8FFParamsi,"axG",@progbits,_ZL11fasten_mainILm4EEviiPK4AtomS2_PKfS4_S4_S4_S4_S4_PfPK8FFParamsi,comdat
	.globl	_ZL11fasten_mainILm4EEviiPK4AtomS2_PKfS4_S4_S4_S4_S4_PfPK8FFParamsi ; -- Begin function _ZL11fasten_mainILm4EEviiPK4AtomS2_PKfS4_S4_S4_S4_S4_PfPK8FFParamsi
	.p2align	8
	.type	_ZL11fasten_mainILm4EEviiPK4AtomS2_PKfS4_S4_S4_S4_S4_PfPK8FFParamsi,@function
_ZL11fasten_mainILm4EEviiPK4AtomS2_PKfS4_S4_S4_S4_S4_PfPK8FFParamsi: ; @_ZL11fasten_mainILm4EEviiPK4AtomS2_PKfS4_S4_S4_S4_S4_PfPK8FFParamsi
; %bb.0:
	s_load_dword s3, s[0:1], 0x6c
	s_load_dword s4, s[0:1], 0x58
	s_load_dwordx16 s[40:55], s[0:1], 0x8
	s_mov_b32 s11, 0
	s_mov_b64 s[12:13], 0
	s_waitcnt lgkmcnt(0)
	s_and_b32 s33, s3, 0xffff
	s_mul_i32 s2, s2, s33
	v_lshl_add_u32 v54, s2, 2, v0
	s_add_i32 s2, s4, -4
	v_mov_b32_e32 v0, s2
	v_cmp_gt_i32_e64 s[2:3], s4, v54
	s_lshl_b32 s10, s33, 2
	s_brev_b32 s18, 18
	v_cndmask_b32_e64 v0, v0, v54, s[2:3]
	v_ashrrev_i32_e32 v1, 31, v0
	v_lshlrev_b64 v[0:1], 2, v[0:1]
	s_mov_b32 s19, 0xfe5163ab
	s_mov_b32 s20, 0x3c439041
	;; [unrolled: 1-line block ×10, first 2 shown]
	v_mov_b32_e32 v6, 0x3c0881c4
	v_mov_b32_e32 v7, 0xbab64f3b
	s_movk_i32 s29, 0x1f8
	v_mov_b32_e32 v8, 0
	v_mov_b32_e32 v3, 0
	v_not_b32_e32 v9, 63
	v_not_b32_e32 v10, 31
	v_mov_b32_e32 v11, 0x7fc00000
	s_mov_b32 s30, s11
                                        ; implicit-def: $vgpr2
                                        ; implicit-def: $vgpr2
	;; [unrolled: 1-line block ×3, first 2 shown]
                                        ; implicit-def: $vgpr56
                                        ; implicit-def: $vgpr78
                                        ; implicit-def: $vgpr53
	s_branch .LBB2_2
.LBB2_1:                                ;   in Loop: Header=BB2_2 Depth=1
	s_or_b64 exec, exec, s[4:5]
	v_mul_f32_e32 v27, v26, v26
	v_fmamk_f32 v28, v27, 0xb94c1982, v6
	v_fmaak_f32 v28, v27, v28, 0xbe2aaa9d
	v_mul_f32_e32 v28, v27, v28
	v_fmac_f32_e32 v26, v26, v28
	v_fmamk_f32 v28, v27, 0x37d75334, v7
	v_fmaak_f32 v28, v27, v28, 0x3d2aabf7
	v_fmaak_f32 v28, v27, v28, 0xbf000004
	v_fma_f32 v27, v27, v28, 1.0
	v_and_b32_e32 v28, 1, v25
	v_lshlrev_b32_e32 v25, 30, v25
	v_cmp_eq_u32_e32 vcc, 0, v28
	v_and_b32_e32 v25, 0x80000000, v25
	v_xor_b32_e32 v23, v23, v22
	v_cndmask_b32_e32 v26, v27, v26, vcc
	v_xor_b32_e32 v23, v23, v25
	v_xor_b32_e32 v23, v23, v26
	v_cmp_class_f32_e64 vcc, v22, s29
	v_mul_f32_e32 v22, v21, v21
	v_mul_f32_e32 v25, v20, v20
	v_cndmask_b32_e32 v28, v11, v23, vcc
	v_fmamk_f32 v23, v22, 0xb94c1982, v6
	v_fmaak_f32 v23, v22, v23, 0xbe2aaa9d
	v_mul_f32_e32 v23, v22, v23
	v_fmac_f32_e32 v21, v21, v23
	v_fmamk_f32 v23, v22, 0x37d75334, v7
	v_fmaak_f32 v23, v22, v23, 0x3d2aabf7
	v_fmaak_f32 v23, v22, v23, 0xbf000004
	v_fma_f32 v22, v22, v23, 1.0
	v_and_b32_e32 v23, 1, v4
	v_cmp_eq_u32_e64 s[4:5], 0, v23
	v_lshlrev_b32_e32 v4, 30, v4
	v_and_b32_e32 v4, 0x80000000, v4
	v_cndmask_b32_e64 v21, -v21, v22, s[4:5]
	v_xor_b32_e32 v4, v4, v21
	v_fmamk_f32 v21, v25, 0xb94c1982, v6
	v_fmaak_f32 v21, v25, v21, 0xbe2aaa9d
	v_lshl_add_u64 v[22:23], s[50:51], 0, v[0:1]
	v_mul_f32_e32 v26, v25, v21
	global_load_dword v21, v[22:23], off
	v_fmamk_f32 v22, v25, 0x37d75334, v7
	v_fmaak_f32 v22, v25, v22, 0x3d2aabf7
	v_fmaak_f32 v22, v25, v22, 0xbf000004
	v_fmac_f32_e32 v20, v20, v26
	v_fma_f32 v25, v25, v22, 1.0
	v_and_b32_e32 v26, 1, v19
	v_lshl_add_u64 v[22:23], s[52:53], 0, v[0:1]
	global_load_dword v23, v[22:23], off
	v_cmp_eq_u32_e64 s[6:7], 0, v26
	v_lshl_add_u64 v[26:27], s[54:55], 0, v[0:1]
	v_lshlrev_b32_e32 v19, 30, v19
	v_cndmask_b32_e64 v20, v25, v20, s[6:7]
	global_load_dword v25, v[26:27], off
	v_cmp_class_f32_e64 s[4:5], v17, s29
	v_and_b32_e32 v19, 0x80000000, v19
	v_xor_b32_e32 v17, v18, v17
	v_mul_f32_e32 v18, v16, v16
	v_xor_b32_e32 v17, v17, v19
	v_fmamk_f32 v19, v18, 0xb94c1982, v6
	v_fmaak_f32 v19, v18, v19, 0xbe2aaa9d
	v_mul_f32_e32 v19, v18, v19
	v_fmac_f32_e32 v16, v16, v19
	v_fmamk_f32 v19, v18, 0x37d75334, v7
	v_fmaak_f32 v19, v18, v19, 0x3d2aabf7
	v_fmaak_f32 v19, v18, v19, 0xbf000004
	v_xor_b32_e32 v17, v17, v20
	v_fma_f32 v18, v18, v19, 1.0
	v_and_b32_e32 v19, 1, v15
	v_cndmask_b32_e64 v4, v11, v4, s[4:5]
	v_cndmask_b32_e64 v17, v11, v17, s[4:5]
	v_cmp_eq_u32_e64 s[4:5], 0, v19
	v_lshlrev_b32_e32 v15, 30, v15
	v_and_b32_e32 v15, 0x80000000, v15
	v_cndmask_b32_e64 v16, -v16, v18, s[4:5]
	v_xor_b32_e32 v15, v15, v16
	v_mul_f32_e32 v16, v14, v14
	v_fmamk_f32 v18, v16, 0xb94c1982, v6
	v_fmaak_f32 v18, v16, v18, 0xbe2aaa9d
	v_mul_f32_e32 v18, v16, v18
	v_fmac_f32_e32 v14, v14, v18
	v_fmamk_f32 v18, v16, 0x37d75334, v7
	v_fmaak_f32 v18, v16, v18, 0x3d2aabf7
	v_fmaak_f32 v18, v16, v18, 0xbf000004
	v_fma_f32 v16, v16, v18, 1.0
	v_and_b32_e32 v18, 1, v13
	v_lshlrev_b32_e32 v13, 30, v13
	v_cmp_class_f32_e64 s[4:5], v5, s29
	v_cmp_eq_u32_e64 s[6:7], 0, v18
	v_and_b32_e32 v13, 0x80000000, v13
	v_xor_b32_e32 v5, v12, v5
	v_cndmask_b32_e64 v14, v16, v14, s[6:7]
	v_xor_b32_e32 v5, v5, v13
	v_xor_b32_e32 v5, v5, v14
	v_cndmask_b32_e64 v14, v11, v5, s[4:5]
	v_mul_f32_e32 v5, v24, v24
	v_fmamk_f32 v12, v5, 0xb94c1982, v6
	v_fmaak_f32 v12, v5, v12, 0xbe2aaa9d
	v_mul_f32_e32 v12, v5, v12
	v_fmac_f32_e32 v24, v24, v12
	v_fmamk_f32 v12, v5, 0x37d75334, v7
	v_fmaak_f32 v12, v5, v12, 0x3d2aabf7
	v_fmaak_f32 v12, v5, v12, 0xbf000004
	v_fma_f32 v5, v5, v12, 1.0
	v_and_b32_e32 v12, 1, v2
	v_cndmask_b32_e64 v15, v11, v15, s[4:5]
	v_cmp_eq_u32_e64 s[4:5], 0, v12
	v_lshlrev_b32_e32 v2, 30, v2
	v_and_b32_e32 v2, 0x80000000, v2
	v_cndmask_b32_e64 v5, -v24, v5, s[4:5]
	s_add_i32 s4, s30, 0
	v_xor_b32_e32 v2, v2, v5
	s_cmp_lg_u32 s12, 0
	v_cndmask_b32_e32 v12, v11, v2, vcc
	v_mul_f32_e32 v16, v14, v17
	s_cselect_b64 vcc, -1, 0
	s_cmp_lg_u32 s12, 1
	v_mul_f32_e32 v5, v16, v12
	v_mul_f32_e32 v13, v15, v28
	;; [unrolled: 1-line block ×3, first 2 shown]
	v_cndmask_b32_e32 v56, 0, v56, vcc
	s_cselect_b64 vcc, -1, 0
	s_cmp_lg_u32 s12, 2
	v_pk_add_f32 v[18:19], v[4:5], v[12:13] neg_lo:[0,1] neg_hi:[0,1]
	v_mul_f32_e32 v20, v22, v12
	v_cndmask_b32_e32 v57, 0, v57, vcc
	s_cselect_b64 vcc, -1, 0
	s_cmp_lg_u32 s12, 3
	v_add_u32_e32 v2, s30, v8
	v_fmac_f32_e32 v20, v14, v28
	v_mul_f32_e32 v18, v4, v12
	v_mul_f32_e32 v5, v16, v28
	v_mul_f32_e32 v13, v15, v12
	v_cndmask_b32_e32 v78, 0, v78, vcc
	s_cselect_b64 vcc, -1, 0
	s_add_i32 s30, s30, 48
	s_waitcnt vmcnt(2)
	scratch_store_dwordx4 off, v[18:21], s4
	s_add_u32 s12, s12, 1
	s_addc_u32 s13, s13, 0
	v_pk_add_f32 v[20:21], v[4:5], v[12:13]
	v_mul_f32_e32 v5, v14, v12
	v_add_u32_e32 v18, 16, v2
	v_fma_f32 v22, v22, v28, -v5
	v_mul_f32_e32 v20, v4, v28
	v_pk_mul_f32 v[4:5], v[14:15], v[4:5] op_sel_hi:[1,0]
	s_waitcnt vmcnt(2)
	scratch_store_dwordx4 v18, v[20:23], off
	v_add_u32_e32 v2, 32, v2
	v_mov_b32_e32 v24, v5
	v_xor_b32_e32 v22, 0x80000000, v17
	v_mov_b32_e32 v23, v4
	v_cndmask_b32_e32 v53, 0, v53, vcc
	s_cmpk_lg_i32 s30, 0xc0
	v_lshl_add_u64 v[0:1], v[0:1], 0, s[10:11]
	s_waitcnt vmcnt(2)
	scratch_store_dwordx4 v2, v[22:25], off
	s_cbranch_scc0 .LBB2_26
.LBB2_2:                                ; =>This Inner Loop Header: Depth=1
	v_lshl_add_u64 v[4:5], s[44:45], 0, v[0:1]
	global_load_dword v5, v[4:5], off
                                        ; implicit-def: $vgpr13
                                        ; implicit-def: $vgpr14
	s_waitcnt vmcnt(0)
	v_and_b32_e32 v12, 0x7fffffff, v5
	v_lshrrev_b32_e32 v2, 23, v12
	v_and_b32_e32 v4, 0x7fffff, v12
	v_cmp_nlt_f32_e64 s[14:15], |v5|, s18
	v_add_u32_e32 v17, 0xffffff88, v2
	v_or_b32_e32 v4, 0x800000, v4
	s_and_saveexec_b64 s[4:5], s[14:15]
	s_xor_b64 s[16:17], exec, s[4:5]
	s_cbranch_execz .LBB2_4
; %bb.3:                                ;   in Loop: Header=BB2_2 Depth=1
	v_cmp_lt_u32_e32 vcc, 63, v17
	v_mad_u64_u32 v[14:15], s[8:9], v4, s19, 0
	s_nop 0
	v_cndmask_b32_e32 v2, 0, v9, vcc
	v_add_u32_e32 v2, v2, v17
	v_cmp_lt_u32_e64 s[4:5], 31, v2
	s_nop 1
	v_cndmask_b32_e64 v13, 0, v10, s[4:5]
	v_add_u32_e32 v2, v13, v2
	v_cmp_lt_u32_e64 s[6:7], 31, v2
	s_nop 1
	v_cndmask_b32_e64 v13, 0, v10, s[6:7]
	v_add_u32_e32 v13, v13, v2
	v_mov_b32_e32 v2, v15
	v_mad_u64_u32 v[18:19], s[8:9], v4, s20, v[2:3]
	v_mov_b32_e32 v2, v19
	v_mad_u64_u32 v[20:21], s[8:9], v4, s21, v[2:3]
	;; [unrolled: 2-line block ×6, first 2 shown]
	v_cndmask_b32_e32 v15, v26, v22, vcc
	v_cndmask_b32_e32 v2, v28, v24, vcc
	;; [unrolled: 1-line block ×3, first 2 shown]
	v_cndmask_b32_e64 v16, v2, v15, s[4:5]
	v_cndmask_b32_e64 v2, v19, v2, s[4:5]
	v_cndmask_b32_e32 v19, v24, v20, vcc
	v_cndmask_b32_e64 v15, v15, v19, s[4:5]
	v_sub_u32_e32 v21, 32, v13
	v_cmp_eq_u32_e64 s[8:9], 0, v13
	v_cndmask_b32_e32 v13, v22, v18, vcc
	v_cndmask_b32_e64 v2, v2, v16, s[6:7]
	v_cndmask_b32_e64 v16, v16, v15, s[6:7]
	;; [unrolled: 1-line block ×3, first 2 shown]
	v_alignbit_b32 v23, v2, v16, v21
	v_cndmask_b32_e64 v15, v15, v18, s[6:7]
	v_cndmask_b32_e32 v14, v20, v14, vcc
	v_cndmask_b32_e64 v2, v23, v2, s[8:9]
	v_alignbit_b32 v19, v16, v15, v21
	v_cndmask_b32_e64 v13, v13, v14, s[4:5]
	v_cndmask_b32_e64 v16, v19, v16, s[8:9]
	v_bfe_u32 v23, v2, 29, 1
	v_cndmask_b32_e64 v13, v18, v13, s[6:7]
	v_alignbit_b32 v19, v2, v16, 30
	v_sub_u32_e32 v24, 0, v23
	v_alignbit_b32 v14, v15, v13, v21
	v_xor_b32_e32 v25, v19, v24
	v_cndmask_b32_e64 v14, v14, v15, s[8:9]
	v_alignbit_b32 v15, v16, v14, 30
	v_ffbh_u32_e32 v16, v25
	v_add_u32_e32 v16, 1, v16
	v_cmp_ne_u32_e32 vcc, v19, v24
	v_alignbit_b32 v13, v14, v13, 30
	v_xor_b32_e32 v15, v15, v24
	v_cndmask_b32_e32 v16, 33, v16, vcc
	v_sub_u32_e32 v18, 32, v16
	v_xor_b32_e32 v13, v13, v24
	v_alignbit_b32 v19, v25, v15, v18
	v_alignbit_b32 v13, v15, v13, v18
	;; [unrolled: 1-line block ×3, first 2 shown]
	v_ffbh_u32_e32 v15, v14
	v_min_u32_e32 v15, 32, v15
	v_lshrrev_b32_e32 v22, 29, v2
	v_sub_u32_e32 v18, 31, v15
	v_alignbit_b32 v13, v14, v13, v18
	v_lshlrev_b32_e32 v14, 31, v22
	v_or_b32_e32 v18, 0x33800000, v14
	v_add_lshl_u32 v15, v15, v16, 23
	v_lshrrev_b32_e32 v13, 9, v13
	v_sub_u32_e32 v15, v18, v15
	v_or_b32_e32 v13, v15, v13
	v_alignbit_b32 v15, v16, v19, 9
	v_or_b32_e32 v14, v15, v14
	v_xor_b32_e32 v14, 1.0, v14
	v_mul_f32_e32 v15, 0x3fc90fda, v14
	v_fma_f32 v16, v14, s26, -v15
	v_fmac_f32_e32 v16, 0x33a22168, v14
	v_fmac_f32_e32 v16, 0x3fc90fda, v13
	v_lshrrev_b32_e32 v2, 30, v2
	v_add_f32_e32 v14, v15, v16
	v_add_u32_e32 v13, v23, v2
.LBB2_4:                                ;   in Loop: Header=BB2_2 Depth=1
	s_or_saveexec_b64 s[4:5], s[16:17]
	v_mul_f32_e64 v2, |v5|, s27
	v_rndne_f32_e32 v2, v2
	s_xor_b64 exec, exec, s[4:5]
; %bb.5:                                ;   in Loop: Header=BB2_2 Depth=1
	v_cvt_i32_f32_e32 v13, v2
	v_fma_f32 v14, v2, s28, |v5|
	v_fmac_f32_e32 v14, 0xb3a22168, v2
	v_fmac_f32_e32 v14, 0xa7c234c4, v2
; %bb.6:                                ;   in Loop: Header=BB2_2 Depth=1
	s_or_b64 exec, exec, s[4:5]
                                        ; implicit-def: $vgpr15
                                        ; implicit-def: $vgpr16
	s_and_saveexec_b64 s[4:5], s[14:15]
	s_xor_b64 s[14:15], exec, s[4:5]
	s_cbranch_execz .LBB2_8
; %bb.7:                                ;   in Loop: Header=BB2_2 Depth=1
	v_cmp_lt_u32_e32 vcc, 63, v17
	s_nop 1
	v_cndmask_b32_e32 v2, 0, v9, vcc
	v_add_u32_e32 v2, v2, v17
	v_cmp_lt_u32_e64 s[4:5], 31, v2
	v_mad_u64_u32 v[16:17], s[8:9], v4, s19, 0
	s_nop 0
	v_cndmask_b32_e64 v15, 0, v10, s[4:5]
	v_add_u32_e32 v2, v15, v2
	v_cmp_lt_u32_e64 s[6:7], 31, v2
	s_nop 1
	v_cndmask_b32_e64 v15, 0, v10, s[6:7]
	v_add_u32_e32 v15, v15, v2
	v_mov_b32_e32 v2, v17
	v_mad_u64_u32 v[18:19], s[8:9], v4, s20, v[2:3]
	v_mov_b32_e32 v2, v19
	v_mad_u64_u32 v[20:21], s[8:9], v4, s21, v[2:3]
	;; [unrolled: 2-line block ×6, first 2 shown]
	v_cndmask_b32_e32 v17, v26, v22, vcc
	v_cndmask_b32_e32 v2, v28, v24, vcc
	;; [unrolled: 1-line block ×3, first 2 shown]
	v_cndmask_b32_e64 v4, v2, v17, s[4:5]
	v_cndmask_b32_e64 v2, v19, v2, s[4:5]
	v_cndmask_b32_e32 v19, v24, v20, vcc
	v_cndmask_b32_e64 v17, v17, v19, s[4:5]
	v_sub_u32_e32 v21, 32, v15
	v_cmp_eq_u32_e64 s[8:9], 0, v15
	v_cndmask_b32_e32 v15, v22, v18, vcc
	v_cndmask_b32_e64 v2, v2, v4, s[6:7]
	v_cndmask_b32_e64 v4, v4, v17, s[6:7]
	;; [unrolled: 1-line block ×3, first 2 shown]
	v_alignbit_b32 v23, v2, v4, v21
	v_cndmask_b32_e64 v17, v17, v18, s[6:7]
	v_cndmask_b32_e64 v2, v23, v2, s[8:9]
	v_alignbit_b32 v19, v4, v17, v21
	v_cndmask_b32_e32 v16, v20, v16, vcc
	v_cndmask_b32_e64 v4, v19, v4, s[8:9]
	v_bfe_u32 v23, v2, 29, 1
	v_cndmask_b32_e64 v15, v15, v16, s[4:5]
	v_alignbit_b32 v19, v2, v4, 30
	v_sub_u32_e32 v24, 0, v23
	v_cndmask_b32_e64 v15, v18, v15, s[6:7]
	v_xor_b32_e32 v25, v19, v24
	v_alignbit_b32 v16, v17, v15, v21
	v_cndmask_b32_e64 v16, v16, v17, s[8:9]
	v_ffbh_u32_e32 v17, v25
	v_add_u32_e32 v17, 1, v17
	v_cmp_ne_u32_e32 vcc, v19, v24
	v_alignbit_b32 v4, v4, v16, 30
	v_alignbit_b32 v15, v16, v15, 30
	v_cndmask_b32_e32 v17, 33, v17, vcc
	v_xor_b32_e32 v4, v4, v24
	v_sub_u32_e32 v18, 32, v17
	v_xor_b32_e32 v15, v15, v24
	v_alignbit_b32 v19, v25, v4, v18
	v_alignbit_b32 v4, v4, v15, v18
	;; [unrolled: 1-line block ×3, first 2 shown]
	v_ffbh_u32_e32 v16, v15
	v_min_u32_e32 v16, 32, v16
	v_lshrrev_b32_e32 v22, 29, v2
	v_sub_u32_e32 v18, 31, v16
	v_alignbit_b32 v4, v15, v4, v18
	v_lshlrev_b32_e32 v15, 31, v22
	v_or_b32_e32 v18, 0x33800000, v15
	v_add_lshl_u32 v16, v16, v17, 23
	v_lshrrev_b32_e32 v4, 9, v4
	v_sub_u32_e32 v16, v18, v16
	v_or_b32_e32 v4, v16, v4
	v_alignbit_b32 v16, v17, v19, 9
	v_or_b32_e32 v15, v16, v15
	v_xor_b32_e32 v15, 1.0, v15
	v_mul_f32_e32 v16, 0x3fc90fda, v15
	v_fma_f32 v17, v15, s26, -v16
	v_fmac_f32_e32 v17, 0x33a22168, v15
	v_fmac_f32_e32 v17, 0x3fc90fda, v4
	v_lshrrev_b32_e32 v2, 30, v2
	v_add_f32_e32 v16, v16, v17
	v_add_u32_e32 v15, v23, v2
                                        ; implicit-def: $vgpr2
	s_andn2_saveexec_b64 s[4:5], s[14:15]
	s_cbranch_execnz .LBB2_9
	s_branch .LBB2_10
.LBB2_8:                                ;   in Loop: Header=BB2_2 Depth=1
	s_andn2_saveexec_b64 s[4:5], s[14:15]
.LBB2_9:                                ;   in Loop: Header=BB2_2 Depth=1
	v_cvt_i32_f32_e32 v15, v2
	v_fma_f32 v16, v2, s28, |v5|
	v_fmac_f32_e32 v16, 0xb3a22168, v2
	v_fmac_f32_e32 v16, 0xa7c234c4, v2
.LBB2_10:                               ;   in Loop: Header=BB2_2 Depth=1
	s_or_b64 exec, exec, s[4:5]
	v_lshl_add_u64 v[18:19], s[46:47], 0, v[0:1]
	global_load_dword v17, v[18:19], off
                                        ; implicit-def: $vgpr19
                                        ; implicit-def: $vgpr20
	s_waitcnt vmcnt(0)
	v_and_b32_e32 v18, 0x7fffffff, v17
	v_lshrrev_b32_e32 v2, 23, v18
	v_and_b32_e32 v4, 0x7fffff, v18
	v_cmp_nlt_f32_e64 s[14:15], |v17|, s18
	v_add_u32_e32 v23, 0xffffff88, v2
	v_or_b32_e32 v22, 0x800000, v4
	s_and_saveexec_b64 s[4:5], s[14:15]
	s_xor_b64 s[16:17], exec, s[4:5]
	s_cbranch_execz .LBB2_12
; %bb.11:                               ;   in Loop: Header=BB2_2 Depth=1
	v_cmp_lt_u32_e32 vcc, 63, v23
	v_mad_u64_u32 v[20:21], s[8:9], v22, s19, 0
	s_nop 0
	v_cndmask_b32_e32 v2, 0, v9, vcc
	v_add_u32_e32 v2, v2, v23
	v_cmp_lt_u32_e64 s[4:5], 31, v2
	s_nop 1
	v_cndmask_b32_e64 v4, 0, v10, s[4:5]
	v_add_u32_e32 v2, v4, v2
	v_cmp_lt_u32_e64 s[6:7], 31, v2
	s_nop 1
	v_cndmask_b32_e64 v4, 0, v10, s[6:7]
	v_add_u32_e32 v4, v4, v2
	v_mov_b32_e32 v2, v21
	v_mad_u64_u32 v[24:25], s[8:9], v22, s20, v[2:3]
	v_mov_b32_e32 v2, v25
	v_mad_u64_u32 v[26:27], s[8:9], v22, s21, v[2:3]
	v_mov_b32_e32 v2, v27
	v_mad_u64_u32 v[28:29], s[8:9], v22, s22, v[2:3]
	v_mov_b32_e32 v2, v29
	v_mad_u64_u32 v[30:31], s[8:9], v22, s23, v[2:3]
	v_mov_b32_e32 v2, v31
	v_mad_u64_u32 v[32:33], s[8:9], v22, s24, v[2:3]
	v_mov_b32_e32 v2, v33
	v_mad_u64_u32 v[34:35], s[8:9], v22, s25, v[2:3]
	v_cndmask_b32_e32 v19, v32, v28, vcc
	v_cndmask_b32_e32 v2, v34, v30, vcc
	;; [unrolled: 1-line block ×3, first 2 shown]
	v_cndmask_b32_e64 v21, v2, v19, s[4:5]
	v_cndmask_b32_e64 v2, v25, v2, s[4:5]
	v_cndmask_b32_e32 v25, v30, v26, vcc
	v_cndmask_b32_e64 v19, v19, v25, s[4:5]
	v_sub_u32_e32 v27, 32, v4
	v_cmp_eq_u32_e64 s[8:9], 0, v4
	v_cndmask_b32_e32 v4, v28, v24, vcc
	v_cndmask_b32_e64 v2, v2, v21, s[6:7]
	v_cndmask_b32_e64 v21, v21, v19, s[6:7]
	;; [unrolled: 1-line block ×3, first 2 shown]
	v_alignbit_b32 v29, v2, v21, v27
	v_cndmask_b32_e64 v19, v19, v24, s[6:7]
	v_cndmask_b32_e32 v20, v26, v20, vcc
	v_cndmask_b32_e64 v2, v29, v2, s[8:9]
	v_alignbit_b32 v25, v21, v19, v27
	v_cndmask_b32_e64 v4, v4, v20, s[4:5]
	v_cndmask_b32_e64 v21, v25, v21, s[8:9]
	v_bfe_u32 v29, v2, 29, 1
	v_cndmask_b32_e64 v4, v24, v4, s[6:7]
	v_alignbit_b32 v25, v2, v21, 30
	v_sub_u32_e32 v30, 0, v29
	v_alignbit_b32 v20, v19, v4, v27
	v_xor_b32_e32 v31, v25, v30
	v_cndmask_b32_e64 v19, v20, v19, s[8:9]
	v_alignbit_b32 v20, v21, v19, 30
	v_ffbh_u32_e32 v21, v31
	v_add_u32_e32 v21, 1, v21
	v_cmp_ne_u32_e32 vcc, v25, v30
	v_alignbit_b32 v4, v19, v4, 30
	v_xor_b32_e32 v20, v20, v30
	v_cndmask_b32_e32 v21, 33, v21, vcc
	v_sub_u32_e32 v24, 32, v21
	v_xor_b32_e32 v4, v4, v30
	v_alignbit_b32 v25, v31, v20, v24
	v_alignbit_b32 v4, v20, v4, v24
	;; [unrolled: 1-line block ×3, first 2 shown]
	v_ffbh_u32_e32 v20, v19
	v_min_u32_e32 v20, 32, v20
	v_lshrrev_b32_e32 v28, 29, v2
	v_sub_u32_e32 v24, 31, v20
	v_alignbit_b32 v4, v19, v4, v24
	v_lshlrev_b32_e32 v19, 31, v28
	v_or_b32_e32 v24, 0x33800000, v19
	v_add_lshl_u32 v20, v20, v21, 23
	v_lshrrev_b32_e32 v4, 9, v4
	v_sub_u32_e32 v20, v24, v20
	v_or_b32_e32 v4, v20, v4
	v_alignbit_b32 v20, v21, v25, 9
	v_or_b32_e32 v19, v20, v19
	v_xor_b32_e32 v19, 1.0, v19
	v_mul_f32_e32 v20, 0x3fc90fda, v19
	v_fma_f32 v21, v19, s26, -v20
	v_fmac_f32_e32 v21, 0x33a22168, v19
	v_fmac_f32_e32 v21, 0x3fc90fda, v4
	v_lshrrev_b32_e32 v2, 30, v2
	v_add_f32_e32 v20, v20, v21
	v_add_u32_e32 v19, v29, v2
.LBB2_12:                               ;   in Loop: Header=BB2_2 Depth=1
	s_or_saveexec_b64 s[4:5], s[16:17]
	v_mul_f32_e64 v2, |v17|, s27
	v_rndne_f32_e32 v2, v2
	s_xor_b64 exec, exec, s[4:5]
; %bb.13:                               ;   in Loop: Header=BB2_2 Depth=1
	v_cvt_i32_f32_e32 v19, v2
	v_fma_f32 v20, v2, s28, |v17|
	v_fmac_f32_e32 v20, 0xb3a22168, v2
	v_fmac_f32_e32 v20, 0xa7c234c4, v2
; %bb.14:                               ;   in Loop: Header=BB2_2 Depth=1
	s_or_b64 exec, exec, s[4:5]
                                        ; implicit-def: $vgpr4
                                        ; implicit-def: $vgpr21
	s_and_saveexec_b64 s[4:5], s[14:15]
	s_xor_b64 s[14:15], exec, s[4:5]
	s_cbranch_execz .LBB2_16
; %bb.15:                               ;   in Loop: Header=BB2_2 Depth=1
	v_cmp_lt_u32_e32 vcc, 63, v23
	v_mad_u64_u32 v[24:25], s[8:9], v22, s19, 0
	s_nop 0
	v_cndmask_b32_e32 v2, 0, v9, vcc
	v_add_u32_e32 v2, v2, v23
	v_cmp_lt_u32_e64 s[4:5], 31, v2
	s_nop 1
	v_cndmask_b32_e64 v4, 0, v10, s[4:5]
	v_add_u32_e32 v2, v4, v2
	v_cmp_lt_u32_e64 s[6:7], 31, v2
	s_nop 1
	v_cndmask_b32_e64 v4, 0, v10, s[6:7]
	v_add_u32_e32 v4, v4, v2
	v_mov_b32_e32 v2, v25
	v_mad_u64_u32 v[26:27], s[8:9], v22, s20, v[2:3]
	v_mov_b32_e32 v2, v27
	v_mad_u64_u32 v[28:29], s[8:9], v22, s21, v[2:3]
	;; [unrolled: 2-line block ×6, first 2 shown]
	v_cndmask_b32_e32 v21, v34, v30, vcc
	v_cndmask_b32_e32 v2, v22, v32, vcc
	;; [unrolled: 1-line block ×3, first 2 shown]
	v_cndmask_b32_e64 v22, v2, v21, s[4:5]
	v_cndmask_b32_e64 v2, v23, v2, s[4:5]
	v_cndmask_b32_e32 v23, v32, v28, vcc
	v_cndmask_b32_e64 v21, v21, v23, s[4:5]
	v_sub_u32_e32 v25, 32, v4
	v_cmp_eq_u32_e64 s[8:9], 0, v4
	v_cndmask_b32_e32 v4, v30, v26, vcc
	v_cndmask_b32_e64 v2, v2, v22, s[6:7]
	v_cndmask_b32_e64 v22, v22, v21, s[6:7]
	;; [unrolled: 1-line block ×3, first 2 shown]
	v_alignbit_b32 v27, v2, v22, v25
	v_cndmask_b32_e64 v21, v21, v23, s[6:7]
	v_cndmask_b32_e64 v2, v27, v2, s[8:9]
	v_alignbit_b32 v26, v22, v21, v25
	v_cndmask_b32_e32 v24, v28, v24, vcc
	v_cndmask_b32_e64 v22, v26, v22, s[8:9]
	v_bfe_u32 v29, v2, 29, 1
	v_cndmask_b32_e64 v4, v4, v24, s[4:5]
	v_alignbit_b32 v26, v2, v22, 30
	v_sub_u32_e32 v30, 0, v29
	v_cndmask_b32_e64 v4, v23, v4, s[6:7]
	v_xor_b32_e32 v31, v26, v30
	v_alignbit_b32 v23, v21, v4, v25
	v_cndmask_b32_e64 v21, v23, v21, s[8:9]
	v_ffbh_u32_e32 v23, v31
	v_add_u32_e32 v23, 1, v23
	v_cmp_ne_u32_e32 vcc, v26, v30
	v_alignbit_b32 v22, v22, v21, 30
	v_alignbit_b32 v4, v21, v4, 30
	v_cndmask_b32_e32 v23, 33, v23, vcc
	v_xor_b32_e32 v22, v22, v30
	v_sub_u32_e32 v24, 32, v23
	v_xor_b32_e32 v4, v4, v30
	v_alignbit_b32 v25, v31, v22, v24
	v_alignbit_b32 v4, v22, v4, v24
	;; [unrolled: 1-line block ×3, first 2 shown]
	v_ffbh_u32_e32 v22, v21
	v_min_u32_e32 v22, 32, v22
	v_lshrrev_b32_e32 v27, 29, v2
	v_sub_u32_e32 v24, 31, v22
	v_alignbit_b32 v4, v21, v4, v24
	v_lshlrev_b32_e32 v21, 31, v27
	v_or_b32_e32 v24, 0x33800000, v21
	v_add_lshl_u32 v22, v22, v23, 23
	v_lshrrev_b32_e32 v4, 9, v4
	v_sub_u32_e32 v22, v24, v22
	v_or_b32_e32 v4, v22, v4
	v_alignbit_b32 v22, v23, v25, 9
	v_or_b32_e32 v21, v22, v21
	v_xor_b32_e32 v21, 1.0, v21
	v_mul_f32_e32 v22, 0x3fc90fda, v21
	v_fma_f32 v23, v21, s26, -v22
	v_fmac_f32_e32 v23, 0x33a22168, v21
	v_fmac_f32_e32 v23, 0x3fc90fda, v4
	v_lshrrev_b32_e32 v2, 30, v2
	v_add_f32_e32 v21, v22, v23
	v_add_u32_e32 v4, v29, v2
                                        ; implicit-def: $vgpr2
	s_andn2_saveexec_b64 s[4:5], s[14:15]
	s_cbranch_execnz .LBB2_17
	s_branch .LBB2_18
.LBB2_16:                               ;   in Loop: Header=BB2_2 Depth=1
	s_andn2_saveexec_b64 s[4:5], s[14:15]
.LBB2_17:                               ;   in Loop: Header=BB2_2 Depth=1
	v_cvt_i32_f32_e32 v4, v2
	v_fma_f32 v21, v2, s28, |v17|
	v_fmac_f32_e32 v21, 0xb3a22168, v2
	v_fmac_f32_e32 v21, 0xa7c234c4, v2
.LBB2_18:                               ;   in Loop: Header=BB2_2 Depth=1
	s_or_b64 exec, exec, s[4:5]
	v_lshl_add_u64 v[22:23], s[48:49], 0, v[0:1]
	global_load_dword v22, v[22:23], off
                                        ; implicit-def: $vgpr25
                                        ; implicit-def: $vgpr26
	s_waitcnt vmcnt(0)
	v_and_b32_e32 v23, 0x7fffffff, v22
	v_lshrrev_b32_e32 v2, 23, v23
	v_and_b32_e32 v24, 0x7fffff, v23
	v_cmp_nlt_f32_e64 s[14:15], |v22|, s18
	v_add_u32_e32 v28, 0xffffff88, v2
	v_or_b32_e32 v27, 0x800000, v24
	s_and_saveexec_b64 s[4:5], s[14:15]
	s_xor_b64 s[16:17], exec, s[4:5]
	s_cbranch_execz .LBB2_20
; %bb.19:                               ;   in Loop: Header=BB2_2 Depth=1
	v_cmp_lt_u32_e32 vcc, 63, v28
	s_nop 1
	v_cndmask_b32_e32 v2, 0, v9, vcc
	v_add_u32_e32 v2, v2, v28
	v_cmp_lt_u32_e64 s[4:5], 31, v2
	s_nop 1
	v_cndmask_b32_e64 v24, 0, v10, s[4:5]
	v_add_u32_e32 v2, v24, v2
	v_cmp_lt_u32_e64 s[6:7], 31, v2
	s_nop 1
	v_cndmask_b32_e64 v24, 0, v10, s[6:7]
	v_add_u32_e32 v26, v24, v2
	v_mad_u64_u32 v[24:25], s[8:9], v27, s19, 0
	v_mov_b32_e32 v2, v25
	v_mad_u64_u32 v[30:31], s[8:9], v27, s20, v[2:3]
	v_mov_b32_e32 v2, v31
	;; [unrolled: 2-line block ×6, first 2 shown]
	v_mad_u64_u32 v[40:41], s[8:9], v27, s25, v[2:3]
	v_cndmask_b32_e32 v25, v38, v34, vcc
	v_cndmask_b32_e32 v2, v40, v36, vcc
	v_cndmask_b32_e32 v31, v41, v38, vcc
	v_cndmask_b32_e64 v29, v2, v25, s[4:5]
	v_cndmask_b32_e64 v2, v31, v2, s[4:5]
	v_cndmask_b32_e32 v31, v36, v32, vcc
	v_cndmask_b32_e64 v25, v25, v31, s[4:5]
	v_sub_u32_e32 v33, 32, v26
	v_cmp_eq_u32_e64 s[8:9], 0, v26
	v_cndmask_b32_e32 v26, v34, v30, vcc
	v_cndmask_b32_e64 v2, v2, v29, s[6:7]
	v_cndmask_b32_e64 v29, v29, v25, s[6:7]
	;; [unrolled: 1-line block ×3, first 2 shown]
	v_alignbit_b32 v35, v2, v29, v33
	v_cndmask_b32_e64 v25, v25, v30, s[6:7]
	v_cndmask_b32_e32 v24, v32, v24, vcc
	v_cndmask_b32_e64 v2, v35, v2, s[8:9]
	v_alignbit_b32 v31, v29, v25, v33
	v_cndmask_b32_e64 v24, v26, v24, s[4:5]
	v_cndmask_b32_e64 v29, v31, v29, s[8:9]
	v_bfe_u32 v35, v2, 29, 1
	v_cndmask_b32_e64 v24, v30, v24, s[6:7]
	v_alignbit_b32 v31, v2, v29, 30
	v_sub_u32_e32 v36, 0, v35
	v_alignbit_b32 v26, v25, v24, v33
	v_xor_b32_e32 v37, v31, v36
	v_cndmask_b32_e64 v25, v26, v25, s[8:9]
	v_alignbit_b32 v26, v29, v25, 30
	v_ffbh_u32_e32 v29, v37
	v_add_u32_e32 v29, 1, v29
	v_cmp_ne_u32_e32 vcc, v31, v36
	v_alignbit_b32 v24, v25, v24, 30
	v_xor_b32_e32 v26, v26, v36
	v_cndmask_b32_e32 v29, 33, v29, vcc
	v_sub_u32_e32 v30, 32, v29
	v_xor_b32_e32 v24, v24, v36
	v_alignbit_b32 v31, v37, v26, v30
	v_alignbit_b32 v24, v26, v24, v30
	;; [unrolled: 1-line block ×3, first 2 shown]
	v_ffbh_u32_e32 v26, v25
	v_min_u32_e32 v26, 32, v26
	v_lshrrev_b32_e32 v34, 29, v2
	v_sub_u32_e32 v30, 31, v26
	v_alignbit_b32 v24, v25, v24, v30
	v_lshlrev_b32_e32 v25, 31, v34
	v_or_b32_e32 v30, 0x33800000, v25
	v_add_lshl_u32 v26, v26, v29, 23
	v_lshrrev_b32_e32 v24, 9, v24
	v_sub_u32_e32 v26, v30, v26
	v_or_b32_e32 v24, v26, v24
	v_alignbit_b32 v26, v29, v31, 9
	v_or_b32_e32 v25, v26, v25
	v_xor_b32_e32 v25, 1.0, v25
	v_mul_f32_e32 v26, 0x3fc90fda, v25
	v_fma_f32 v29, v25, s26, -v26
	v_fmac_f32_e32 v29, 0x33a22168, v25
	v_fmac_f32_e32 v29, 0x3fc90fda, v24
	v_lshrrev_b32_e32 v2, 30, v2
	v_add_f32_e32 v26, v26, v29
	v_add_u32_e32 v25, v35, v2
.LBB2_20:                               ;   in Loop: Header=BB2_2 Depth=1
	s_or_saveexec_b64 s[4:5], s[16:17]
	v_mul_f32_e64 v2, |v22|, s27
	v_rndne_f32_e32 v29, v2
	s_xor_b64 exec, exec, s[4:5]
; %bb.21:                               ;   in Loop: Header=BB2_2 Depth=1
	v_cvt_i32_f32_e32 v25, v29
	v_fma_f32 v26, v29, s28, |v22|
	v_fmac_f32_e32 v26, 0xb3a22168, v29
	v_fmac_f32_e32 v26, 0xa7c234c4, v29
; %bb.22:                               ;   in Loop: Header=BB2_2 Depth=1
	s_or_b64 exec, exec, s[4:5]
                                        ; implicit-def: $vgpr2
                                        ; implicit-def: $vgpr24
	s_and_saveexec_b64 s[4:5], s[14:15]
	s_xor_b64 s[14:15], exec, s[4:5]
	s_cbranch_execz .LBB2_24
; %bb.23:                               ;   in Loop: Header=BB2_2 Depth=1
	v_cmp_lt_u32_e32 vcc, 63, v28
	s_nop 1
	v_cndmask_b32_e32 v2, 0, v9, vcc
	v_add_u32_e32 v2, v2, v28
	v_cmp_lt_u32_e64 s[4:5], 31, v2
	v_mad_u64_u32 v[28:29], s[8:9], v27, s19, 0
	s_nop 0
	v_cndmask_b32_e64 v24, 0, v10, s[4:5]
	v_add_u32_e32 v2, v24, v2
	v_cmp_lt_u32_e64 s[6:7], 31, v2
	s_nop 1
	v_cndmask_b32_e64 v24, 0, v10, s[6:7]
	v_add_u32_e32 v24, v24, v2
	v_mov_b32_e32 v2, v29
	v_mad_u64_u32 v[30:31], s[8:9], v27, s20, v[2:3]
	v_mov_b32_e32 v2, v31
	v_mad_u64_u32 v[32:33], s[8:9], v27, s21, v[2:3]
	;; [unrolled: 2-line block ×6, first 2 shown]
	v_cndmask_b32_e32 v29, v38, v34, vcc
	v_cndmask_b32_e32 v2, v40, v36, vcc
	;; [unrolled: 1-line block ×3, first 2 shown]
	v_cndmask_b32_e64 v27, v2, v29, s[4:5]
	v_cndmask_b32_e64 v2, v31, v2, s[4:5]
	v_cndmask_b32_e32 v31, v36, v32, vcc
	v_cndmask_b32_e64 v29, v29, v31, s[4:5]
	v_sub_u32_e32 v33, 32, v24
	v_cmp_eq_u32_e64 s[8:9], 0, v24
	v_cndmask_b32_e32 v24, v34, v30, vcc
	v_cndmask_b32_e64 v2, v2, v27, s[6:7]
	v_cndmask_b32_e64 v27, v27, v29, s[6:7]
	;; [unrolled: 1-line block ×3, first 2 shown]
	v_alignbit_b32 v35, v2, v27, v33
	v_cndmask_b32_e64 v29, v29, v30, s[6:7]
	v_cndmask_b32_e64 v2, v35, v2, s[8:9]
	v_alignbit_b32 v31, v27, v29, v33
	v_cndmask_b32_e32 v28, v32, v28, vcc
	v_cndmask_b32_e64 v27, v31, v27, s[8:9]
	v_bfe_u32 v35, v2, 29, 1
	v_cndmask_b32_e64 v24, v24, v28, s[4:5]
	v_alignbit_b32 v31, v2, v27, 30
	v_sub_u32_e32 v36, 0, v35
	v_cndmask_b32_e64 v24, v30, v24, s[6:7]
	v_xor_b32_e32 v37, v31, v36
	v_alignbit_b32 v28, v29, v24, v33
	v_cndmask_b32_e64 v28, v28, v29, s[8:9]
	v_ffbh_u32_e32 v29, v37
	v_add_u32_e32 v29, 1, v29
	v_cmp_ne_u32_e32 vcc, v31, v36
	v_alignbit_b32 v27, v27, v28, 30
	v_alignbit_b32 v24, v28, v24, 30
	v_cndmask_b32_e32 v29, 33, v29, vcc
	v_xor_b32_e32 v27, v27, v36
	v_sub_u32_e32 v30, 32, v29
	v_xor_b32_e32 v24, v24, v36
	v_alignbit_b32 v31, v37, v27, v30
	v_alignbit_b32 v24, v27, v24, v30
	;; [unrolled: 1-line block ×3, first 2 shown]
	v_ffbh_u32_e32 v28, v27
	v_min_u32_e32 v28, 32, v28
	v_lshrrev_b32_e32 v34, 29, v2
	v_sub_u32_e32 v30, 31, v28
	v_alignbit_b32 v24, v27, v24, v30
	v_lshlrev_b32_e32 v27, 31, v34
	v_or_b32_e32 v30, 0x33800000, v27
	v_add_lshl_u32 v28, v28, v29, 23
	v_lshrrev_b32_e32 v24, 9, v24
	v_sub_u32_e32 v28, v30, v28
	v_or_b32_e32 v24, v28, v24
	v_alignbit_b32 v28, v29, v31, 9
	v_or_b32_e32 v27, v28, v27
	v_xor_b32_e32 v27, 1.0, v27
	v_mul_f32_e32 v28, 0x3fc90fda, v27
	v_fma_f32 v29, v27, s26, -v28
	v_fmac_f32_e32 v29, 0x33a22168, v27
	v_fmac_f32_e32 v29, 0x3fc90fda, v24
	v_lshrrev_b32_e32 v2, 30, v2
	v_add_f32_e32 v24, v28, v29
	v_add_u32_e32 v2, v35, v2
                                        ; implicit-def: $vgpr29
	s_andn2_saveexec_b64 s[4:5], s[14:15]
	s_cbranch_execz .LBB2_1
	s_branch .LBB2_25
.LBB2_24:                               ;   in Loop: Header=BB2_2 Depth=1
	s_andn2_saveexec_b64 s[4:5], s[14:15]
	s_cbranch_execz .LBB2_1
.LBB2_25:                               ;   in Loop: Header=BB2_2 Depth=1
	v_cvt_i32_f32_e32 v2, v29
	v_fma_f32 v24, v29, s28, |v22|
	v_fmac_f32_e32 v24, 0xb3a22168, v29
	v_fmac_f32_e32 v24, 0xa7c234c4, v29
	s_branch .LBB2_1
.LBB2_26:
	scratch_load_dwordx4 v[0:3], off, off offset:156
	scratch_load_dwordx4 v[4:7], off, off offset:172
	;; [unrolled: 1-line block ×4, first 2 shown]
	scratch_load_dwordx3 v[48:50], off, off offset:140
	scratch_load_dwordx4 v[16:19], off, off offset:124
	scratch_load_dwordx3 v[50:52], off, off offset:12
	scratch_load_dwordx4 v[20:23], off, off
	scratch_load_dwordx4 v[24:27], off, off offset:28
	scratch_load_dwordx2 v[58:59], off, off offset:24
	scratch_load_dwordx4 v[28:31], off, off offset:44
	scratch_load_dwordx2 v[60:61], off, off offset:40
	scratch_load_dwordx2 v[62:63], off, off offset:148
	;; [unrolled: 1-line block ×3, first 2 shown]
	scratch_load_dword v55, off, off offset:188
	scratch_load_dwordx4 v[32:35], off, off offset:92
	scratch_load_dwordx4 v[36:39], off, off offset:108
	s_load_dwordx2 s[4:5], s[0:1], 0x0
	s_load_dwordx4 s[44:47], s[0:1], 0x48
	s_mov_b32 s49, 0
	v_mov_b32_e32 v79, 0
	s_movk_i32 s51, 0x46
	s_waitcnt lgkmcnt(0)
	s_max_i32 s58, s5, 1
	s_max_i32 s59, s4, 1
	s_add_u32 s52, s40, 8
	s_movk_i32 s56, 0x45
	s_mov_b32 s57, 0xf800000
	v_mov_b32_e32 v80, 0x260
	s_mov_b32 s50, 0x42340000
	v_mov_b32_e32 v81, 0x40b00000
	v_mov_b32_e32 v82, 0xff7fffff
	;; [unrolled: 1-line block ×4, first 2 shown]
	s_mov_b32 s48, s49
	s_addc_u32 s53, s41, 0
	s_waitcnt vmcnt(16)
	v_mov_b32_e32 v68, v0
	s_waitcnt vmcnt(15)
	v_mov_b32_e32 v69, v4
	;; [unrolled: 2-line block ×3, first 2 shown]
	v_mov_b32_e32 v67, v10
	s_waitcnt vmcnt(12)
	v_mov_b32_e32 v0, v49
	s_waitcnt vmcnt(4)
	;; [unrolled: 2-line block ×3, first 2 shown]
	v_mov_b32_e32 v65, v3
	v_mov_b32_e32 v61, v15
	;; [unrolled: 1-line block ×5, first 2 shown]
.LBB2_27:                               ; =>This Loop Header: Depth=1
                                        ;     Child Loop BB2_28 Depth 2
	s_lshl_b64 s[0:1], s[48:49], 4
	s_add_u32 s0, s42, s0
	s_addc_u32 s1, s43, s1
	global_load_dwordx4 v[44:47], v79, s[0:1]
	s_mov_b32 s60, s58
	s_mov_b64 s[54:55], s[52:53]
	s_waitcnt vmcnt(0)
	v_ashrrev_i32_e32 v3, 31, v47
	v_mov_b32_e32 v2, v47
	v_lshlrev_b64 v[2:3], 4, v[2:3]
	v_lshl_add_u64 v[2:3], s[46:47], 0, v[2:3]
	global_load_dwordx4 v[40:43], v[2:3], off
	v_pk_mul_f32 v[2:3], v[44:45], v[66:67]
	v_fma_f32 v70, v44, v51, v24
	v_fma_f32 v10, v44, v20, v50
	;; [unrolled: 1-line block ×8, first 2 shown]
	v_pk_fma_f32 v[72:73], v[44:45], v[0:1], v[68:69] op_sel_hi:[0,1,1]
	v_fma_f32 v85, v44, v5, v55
	v_add_f32_e32 v2, v12, v2
	v_fmac_f32_e32 v10, v45, v21
	v_fmac_f32_e32 v70, v45, v52
	;; [unrolled: 1-line block ×3, first 2 shown]
	v_pk_fma_f32 v[14:15], v[44:45], v[26:27], v[14:15] op_sel:[1,0,0]
	v_fmac_f32_e32 v9, v45, v34
	v_fmac_f32_e32 v31, v45, v38
	;; [unrolled: 1-line block ×3, first 2 shown]
	v_pk_fma_f32 v[72:73], v[44:45], v[62:63], v[72:73] op_sel:[1,0,0]
	v_fmac_f32_e32 v85, v45, v6
	v_add_f32_e32 v71, v2, v3
	v_pk_fma_f32 v[2:3], v[46:47], v[22:23], v[10:11] op_sel_hi:[0,1,1]
	v_pk_fma_f32 v[10:11], v[46:47], v[60:61], v[14:15] op_sel_hi:[0,1,1]
	v_fmac_f32_e32 v9, v46, v35
	v_fmac_f32_e32 v31, v46, v39
	v_fmac_f32_e32 v49, v46, v19
	v_pk_fma_f32 v[14:15], v[46:47], v[64:65], v[72:73] op_sel_hi:[0,1,1]
	v_fmac_f32_e32 v85, v46, v7
	v_pk_fma_f32 v[70:71], v[46:47], v[58:59], v[70:71] op_sel_hi:[0,1,1]
	s_waitcnt vmcnt(0)
	v_cmp_gt_f32_e64 s[8:9], 0, v42
	v_cmp_lt_f32_e64 s[0:1], 0, v42
	v_cmp_eq_u32_e64 s[4:5], s51, v40
	v_cmp_eq_u32_e64 s[6:7], s56, v40
	v_cndmask_b32_e64 v40, 1.0, v81, s[8:9]
	v_cndmask_b32_e64 v86, v82, 1.0, s[8:9]
	v_mov_b32_e32 v72, v43
.LBB2_28:                               ;   Parent Loop BB2_27 Depth=1
                                        ; =>  This Inner Loop Header: Depth=2
	global_load_dwordx4 v[44:47], v79, s[54:55] offset:-8
	s_waitcnt vmcnt(0)
	v_ashrrev_i32_e32 v75, 31, v47
	v_mov_b32_e32 v74, v47
	v_sub_f32_e32 v4, v49, v46
	v_sub_f32_e32 v43, v85, v46
	;; [unrolled: 1-line block ×4, first 2 shown]
	v_pk_add_f32 v[76:77], v[14:15], v[44:45] neg_lo:[0,1] neg_hi:[0,1]
	v_pk_add_f32 v[88:89], v[10:11], v[46:47] op_sel_hi:[1,0] neg_lo:[0,1] neg_hi:[0,1]
	v_pk_add_f32 v[46:47], v[2:3], v[44:45] op_sel_hi:[1,0] neg_lo:[0,1] neg_hi:[0,1]
	v_pk_add_f32 v[44:45], v[70:71], v[44:45] op_sel:[0,1] neg_lo:[0,1] neg_hi:[0,1]
	v_lshlrev_b64 v[74:75], 4, v[74:75]
	v_mul_f32_e32 v87, v87, v87
	v_pk_mul_f32 v[76:77], v[76:77], v[76:77]
	v_pk_mul_f32 v[44:45], v[44:45], v[44:45]
	v_lshl_add_u64 v[74:75], s[46:47], 0, v[74:75]
	v_fmac_f32_e32 v87, v73, v73
	v_add_f32_e32 v73, v76, v77
	v_pk_fma_f32 v[76:77], v[46:47], v[46:47], v[44:45]
	global_load_dwordx4 v[44:47], v[74:75], off
	v_fmac_f32_e32 v87, v4, v4
	v_fmac_f32_e32 v73, v43, v43
	v_pk_fma_f32 v[74:75], v[88:89], v[88:89], v[76:77]
	v_mul_f32_e32 v4, 0x4f800000, v87
	v_mul_f32_e32 v43, 0x4f800000, v73
	v_cmp_gt_f32_e32 vcc, s57, v73
	v_mul_f32_e32 v76, 0x4f800000, v75
	v_cmp_gt_f32_e64 s[10:11], s57, v75
	v_cmp_gt_f32_e64 s[14:15], s57, v87
	v_mul_f32_e32 v77, 0x4f800000, v74
	v_cmp_gt_f32_e64 s[12:13], s57, v74
	v_cndmask_b32_e64 v4, v87, v4, s[14:15]
	v_cndmask_b32_e32 v43, v73, v43, vcc
	v_cndmask_b32_e64 v73, v75, v76, s[10:11]
	v_cndmask_b32_e64 v74, v74, v77, s[12:13]
	v_sqrt_f32_e32 v75, v4
	v_sqrt_f32_e32 v77, v73
	;; [unrolled: 1-line block ×4, first 2 shown]
	v_add_u32_e32 v88, -1, v75
	v_add_u32_e32 v92, -1, v77
	v_add_u32_e32 v89, 1, v75
	v_add_u32_e32 v90, -1, v76
	v_add_u32_e32 v93, 1, v77
	v_add_u32_e32 v94, -1, v87
	v_fma_f32 v96, -v88, v75, v4
	v_fma_f32 v100, -v92, v77, v73
	v_add_u32_e32 v91, 1, v76
	v_add_u32_e32 v95, 1, v87
	v_fma_f32 v97, -v89, v75, v4
	v_fma_f32 v98, -v90, v76, v43
	;; [unrolled: 1-line block ×4, first 2 shown]
	v_cmp_ge_f32_e64 s[24:25], 0, v96
	v_cmp_ge_f32_e64 s[30:31], 0, v100
	v_fma_f32 v99, -v91, v76, v43
	v_fma_f32 v103, -v95, v87, v74
	v_cmp_ge_f32_e64 s[26:27], 0, v98
	v_cmp_lt_f32_e64 s[34:35], 0, v101
	v_cmp_ge_f32_e64 s[36:37], 0, v102
	v_cmp_lt_f32_e64 s[40:41], 0, v97
	v_cndmask_b32_e64 v75, v75, v88, s[24:25]
	v_cndmask_b32_e64 v77, v77, v92, s[30:31]
	v_cmp_lt_f32_e64 s[28:29], 0, v99
	v_cmp_lt_f32_e64 s[38:39], 0, v103
	v_cndmask_b32_e64 v76, v76, v90, s[26:27]
	v_cndmask_b32_e64 v87, v87, v94, s[36:37]
	;; [unrolled: 1-line block ×6, first 2 shown]
	v_mul_f32_e32 v88, 0x37800000, v75
	v_mul_f32_e32 v90, 0x37800000, v77
	v_cmp_class_f32_e64 s[18:19], v73, v80
	v_cmp_class_f32_e64 s[22:23], v4, v80
	v_mul_f32_e32 v89, 0x37800000, v76
	v_mul_f32_e32 v91, 0x37800000, v87
	v_cndmask_b32_e64 v75, v75, v88, s[14:15]
	v_cndmask_b32_e64 v77, v77, v90, s[10:11]
	v_cmp_class_f32_e64 s[16:17], v43, v80
	v_cmp_class_f32_e64 s[20:21], v74, v80
	v_cndmask_b32_e32 v76, v76, v89, vcc
	v_cndmask_b32_e64 v87, v87, v91, s[12:13]
	v_cndmask_b32_e64 v89, v75, v4, s[22:23]
	;; [unrolled: 1-line block ×5, first 2 shown]
	s_waitcnt vmcnt(0)
	v_add_f32_e32 v4, v41, v45
	v_cmp_gt_f32_e64 s[18:19], 0, v46
	v_cmp_eq_u32_e64 s[14:15], s51, v44
	v_cmp_eq_u32_e64 s[12:13], s56, v44
	v_cmp_lt_f32_e64 s[16:17], 0, v46
	v_cndmask_b32_e64 v87, v86, v40, s[18:19]
	v_div_scale_f32 v96, s[20:21], v4, v4, 1.0
	s_and_b64 s[14:15], s[14:15], s[4:5]
	s_and_b64 s[18:19], s[18:19], s[0:1]
	;; [unrolled: 1-line block ×3, first 2 shown]
	s_or_b64 s[40:41], s[12:13], s[6:7]
	v_div_scale_f32 v100, s[12:13], v87, v87, 1.0
	v_rcp_f32_e32 v102, v96
	v_cmp_neq_f32_e64 s[10:11], 0, v46
	v_mov_b32_e32 v76, v47
	v_sub_f32_e32 v98, v89, v4
	v_sub_f32_e32 v99, v43, v4
	v_pk_add_f32 v[44:45], v[74:75], v[4:5] op_sel_hi:[1,0] neg_lo:[0,1] neg_hi:[0,1]
	v_cndmask_b32_e64 v47, 2.0, 4.0, s[14:15]
	v_cndmask_b32_e64 v73, v46, -v46, s[18:19]
	v_cndmask_b32_e64 v77, v42, -v42, s[16:17]
	v_cndmask_b32_e64 v46, 0.5, v83, s[14:15]
	v_rcp_f32_e32 v103, v100
	v_cmp_gt_f32_e64 s[14:15], 0, v98
	v_cmp_gt_f32_e64 s[12:13], 0, v99
	;; [unrolled: 1-line block ×4, first 2 shown]
	v_add_f32_e32 v88, v73, v77
	v_cmp_lt_f32_e64 s[30:31], v98, v47
	v_cmp_lt_f32_e64 s[34:35], v99, v47
	;; [unrolled: 1-line block ×4, first 2 shown]
	v_fma_f32 v77, -v46, v98, 1.0
	v_fma_f32 v106, -v46, v99, 1.0
	v_pk_fma_f32 v[46:47], v[46:47], v[44:45], 1.0 op_sel_hi:[0,1,0] neg_lo:[1,0,0] neg_hi:[1,0,0]
	v_cndmask_b32_e64 v107, 0, 1.0, s[30:31]
	v_cndmask_b32_e64 v73, 0, 1.0, s[34:35]
	;; [unrolled: 1-line block ×8, first 2 shown]
	v_mul_f32_e32 v107, v107, v110
	v_pk_mul_f32 v[76:77], v[72:73], v[76:77]
	v_pk_mul_f32 v[46:47], v[92:93], v[46:47]
	v_fma_f32 v73, -v96, v102, 1.0
	v_div_scale_f32 v97, vcc, 1.0, v4, 1.0
	v_pk_mul_f32 v[46:47], v[76:77], v[46:47] op_sel_hi:[0,1]
	v_mul_f32_e32 v92, v76, v107
	v_mul_f32_e32 v76, v76, v77
	v_fma_f32 v77, -v100, v103, 1.0
	v_fmac_f32_e32 v102, v73, v102
	v_div_scale_f32 v101, s[16:17], 1.0, v87, 1.0
	v_cndmask_b32_e64 v73, v92, -|v92|, s[40:41]
	v_cndmask_b32_e64 v92, v76, -|v76|, s[40:41]
	v_fmac_f32_e32 v103, v77, v103
	v_mul_f32_e32 v76, v97, v102
	v_mul_f32_e32 v77, v101, v103
	v_fma_f32 v93, -v96, v76, v97
	v_fma_f32 v107, -v100, v77, v101
	v_fmac_f32_e32 v76, v93, v102
	v_fmac_f32_e32 v77, v107, v103
	v_fma_f32 v93, -v96, v76, v97
	v_fma_f32 v96, -v100, v77, v101
	v_div_fmas_f32 v76, v93, v102, v76
	s_mov_b64 vcc, s[16:17]
	v_cmp_lt_f32_e64 s[18:19], v98, v87
	v_cmp_lt_f32_e64 s[24:25], v45, v87
	;; [unrolled: 1-line block ×4, first 2 shown]
	v_div_fixup_f32 v4, v76, v4, 1.0
	v_div_fmas_f32 v76, v96, v103, v77
	v_cndmask_b32_e64 v104, 0, v84, s[14:15]
	v_cndmask_b32_e64 v105, 0, v84, s[12:13]
	;; [unrolled: 1-line block ×4, first 2 shown]
	s_and_b64 s[18:19], s[10:11], s[18:19]
	s_and_b64 s[24:25], s[10:11], s[24:25]
	;; [unrolled: 1-line block ×4, first 2 shown]
	v_div_fixup_f32 v76, v76, v87, 1.0
	v_fma_f32 v77, -v4, v89, 1.0
	v_fma_f32 v43, -v4, v43, 1.0
	v_pk_fma_f32 v[74:75], v[4:5], v[74:75], 1.0 op_sel_hi:[0,1,0] neg_lo:[1,0,0] neg_hi:[1,0,0]
	v_cndmask_b32_e64 v108, 0, 1.0, s[18:19]
	v_cndmask_b32_e64 v95, 0, 1.0, s[24:25]
	;; [unrolled: 1-line block ×4, first 2 shown]
	s_add_u32 s54, s54, 16
	v_cndmask_b32_e64 v47, v47, -|v47|, s[40:41]
	v_cndmask_b32_e64 v46, v46, -|v46|, s[40:41]
	v_fmac_f32_e32 v78, v77, v104
	v_fma_f32 v4, -v76, v98, 1.0
	v_fmac_f32_e32 v53, v43, v105
	v_pk_fma_f32 v[56:57], v[74:75], v[90:91], v[56:57]
	v_pk_fma_f32 v[44:45], v[76:77], v[44:45], 1.0 op_sel_hi:[0,1,0] neg_lo:[1,0,0] neg_hi:[1,0,0]
	v_fma_f32 v43, -v76, v99, 1.0
	v_mul_f32_e32 v106, v88, v108
	v_pk_mul_f32 v[94:95], v[88:89], v[94:95] op_sel_hi:[0,1]
	v_mul_f32_e32 v88, v88, v109
	s_addc_u32 s55, s55, 0
	s_add_i32 s60, s60, -1
	v_cndmask_b32_e64 v4, v4, 1.0, s[14:15]
	v_cndmask_b32_e64 v45, v45, 1.0, s[20:21]
	;; [unrolled: 1-line block ×3, first 2 shown]
	v_pk_fma_f32 v[46:47], v[46:47], s[50:51], v[56:57] op_sel_hi:[1,0,1]
	v_fmac_f32_e32 v78, 0x42340000, v73
	v_fmac_f32_e32 v53, 0x42340000, v92
	v_cndmask_b32_e64 v43, v43, 1.0, s[12:13]
	s_cmp_lg_u32 s60, 0
	v_pk_fma_f32 v[56:57], v[44:45], v[94:95], v[46:47]
	v_fmac_f32_e32 v78, v4, v106
	v_fmac_f32_e32 v53, v43, v88
	s_cbranch_scc1 .LBB2_28
; %bb.29:                               ;   in Loop: Header=BB2_27 Depth=1
	s_add_i32 s48, s48, 1
	s_cmp_lg_u32 s48, s59
	s_cbranch_scc1 .LBB2_27
; %bb.30:
	s_and_saveexec_b64 s[0:1], s[2:3]
	s_cbranch_execz .LBB2_32
; %bb.31:
	v_mov_b32_e32 v55, 0
	v_mul_f32_e32 v2, 0.5, v56
	v_lshl_add_u64 v[0:1], v[54:55], 2, s[44:45]
	v_add_u32_e32 v54, s33, v54
	global_store_dword v[0:1], v2, off
	v_mul_f32_e32 v2, 0.5, v57
	v_lshl_add_u64 v[0:1], v[54:55], 2, s[44:45]
	v_add_u32_e32 v54, s33, v54
	global_store_dword v[0:1], v2, off
	;; [unrolled: 4-line block ×3, first 2 shown]
	v_mul_f32_e32 v2, 0.5, v53
	v_lshl_add_u64 v[0:1], v[54:55], 2, s[44:45]
	global_store_dword v[0:1], v2, off
.LBB2_32:
	s_endpgm
	.section	.rodata,"a",@progbits
	.p2align	6, 0x0
	.amdhsa_kernel _ZL11fasten_mainILm4EEviiPK4AtomS2_PKfS4_S4_S4_S4_S4_PfPK8FFParamsi
		.amdhsa_group_segment_fixed_size 0
		.amdhsa_private_segment_fixed_size 208
		.amdhsa_kernarg_size 352
		.amdhsa_user_sgpr_count 2
		.amdhsa_user_sgpr_dispatch_ptr 0
		.amdhsa_user_sgpr_queue_ptr 0
		.amdhsa_user_sgpr_kernarg_segment_ptr 1
		.amdhsa_user_sgpr_dispatch_id 0
		.amdhsa_user_sgpr_kernarg_preload_length 0
		.amdhsa_user_sgpr_kernarg_preload_offset 0
		.amdhsa_user_sgpr_private_segment_size 0
		.amdhsa_uses_dynamic_stack 0
		.amdhsa_enable_private_segment 1
		.amdhsa_system_sgpr_workgroup_id_x 1
		.amdhsa_system_sgpr_workgroup_id_y 0
		.amdhsa_system_sgpr_workgroup_id_z 0
		.amdhsa_system_sgpr_workgroup_info 0
		.amdhsa_system_vgpr_workitem_id 0
		.amdhsa_next_free_vgpr 111
		.amdhsa_next_free_sgpr 61
		.amdhsa_accum_offset 112
		.amdhsa_reserve_vcc 1
		.amdhsa_float_round_mode_32 0
		.amdhsa_float_round_mode_16_64 0
		.amdhsa_float_denorm_mode_32 3
		.amdhsa_float_denorm_mode_16_64 3
		.amdhsa_dx10_clamp 1
		.amdhsa_ieee_mode 1
		.amdhsa_fp16_overflow 0
		.amdhsa_tg_split 0
		.amdhsa_exception_fp_ieee_invalid_op 0
		.amdhsa_exception_fp_denorm_src 0
		.amdhsa_exception_fp_ieee_div_zero 0
		.amdhsa_exception_fp_ieee_overflow 0
		.amdhsa_exception_fp_ieee_underflow 0
		.amdhsa_exception_fp_ieee_inexact 0
		.amdhsa_exception_int_div_zero 0
	.end_amdhsa_kernel
	.section	.text._ZL11fasten_mainILm4EEviiPK4AtomS2_PKfS4_S4_S4_S4_S4_PfPK8FFParamsi,"axG",@progbits,_ZL11fasten_mainILm4EEviiPK4AtomS2_PKfS4_S4_S4_S4_S4_PfPK8FFParamsi,comdat
.Lfunc_end2:
	.size	_ZL11fasten_mainILm4EEviiPK4AtomS2_PKfS4_S4_S4_S4_S4_PfPK8FFParamsi, .Lfunc_end2-_ZL11fasten_mainILm4EEviiPK4AtomS2_PKfS4_S4_S4_S4_S4_PfPK8FFParamsi
                                        ; -- End function
	.section	.AMDGPU.csdata,"",@progbits
; Kernel info:
; codeLenInByte = 6896
; NumSgprs: 67
; NumVgprs: 111
; NumAgprs: 0
; TotalNumVgprs: 111
; ScratchSize: 208
; MemoryBound: 0
; FloatMode: 240
; IeeeMode: 1
; LDSByteSize: 0 bytes/workgroup (compile time only)
; SGPRBlocks: 8
; VGPRBlocks: 13
; NumSGPRsForWavesPerEU: 67
; NumVGPRsForWavesPerEU: 111
; AccumOffset: 112
; Occupancy: 4
; WaveLimiterHint : 1
; COMPUTE_PGM_RSRC2:SCRATCH_EN: 1
; COMPUTE_PGM_RSRC2:USER_SGPR: 2
; COMPUTE_PGM_RSRC2:TRAP_HANDLER: 0
; COMPUTE_PGM_RSRC2:TGID_X_EN: 1
; COMPUTE_PGM_RSRC2:TGID_Y_EN: 0
; COMPUTE_PGM_RSRC2:TGID_Z_EN: 0
; COMPUTE_PGM_RSRC2:TIDIG_COMP_CNT: 0
; COMPUTE_PGM_RSRC3_GFX90A:ACCUM_OFFSET: 27
; COMPUTE_PGM_RSRC3_GFX90A:TG_SPLIT: 0
	.section	.text._ZL11fasten_mainILm8EEviiPK4AtomS2_PKfS4_S4_S4_S4_S4_PfPK8FFParamsi,"axG",@progbits,_ZL11fasten_mainILm8EEviiPK4AtomS2_PKfS4_S4_S4_S4_S4_PfPK8FFParamsi,comdat
	.globl	_ZL11fasten_mainILm8EEviiPK4AtomS2_PKfS4_S4_S4_S4_S4_PfPK8FFParamsi ; -- Begin function _ZL11fasten_mainILm8EEviiPK4AtomS2_PKfS4_S4_S4_S4_S4_PfPK8FFParamsi
	.p2align	8
	.type	_ZL11fasten_mainILm8EEviiPK4AtomS2_PKfS4_S4_S4_S4_S4_PfPK8FFParamsi,@function
_ZL11fasten_mainILm8EEviiPK4AtomS2_PKfS4_S4_S4_S4_S4_PfPK8FFParamsi: ; @_ZL11fasten_mainILm8EEviiPK4AtomS2_PKfS4_S4_S4_S4_S4_PfPK8FFParamsi
; %bb.0:
	s_load_dword s3, s[0:1], 0x6c
	s_load_dword s4, s[0:1], 0x58
	s_load_dwordx16 s[36:51], s[0:1], 0x8
	s_mov_b32 s9, 0
	s_mov_b64 s[10:11], 0
	s_waitcnt lgkmcnt(0)
	s_and_b32 s27, s3, 0xffff
	s_mul_i32 s2, s2, s27
	v_lshl_add_u32 v4, s2, 3, v0
	s_add_i32 s2, s4, -8
	v_mov_b32_e32 v0, s2
	v_cmp_gt_i32_e64 s[12:13], s4, v4
	v_mov_b32_e32 v2, v4
	scratch_store_dwordx2 off, v[2:3], off offset:576 ; 8-byte Folded Spill
	v_cndmask_b32_e64 v0, v0, v4, s[12:13]
	v_ashrrev_i32_e32 v1, 31, v0
	v_lshlrev_b64 v[0:1], 2, v[0:1]
	s_lshl_b32 s8, s27, 2
	s_brev_b32 s18, 18
	s_mov_b32 s19, 0xfe5163ab
	s_mov_b32 s20, 0x3c439041
	;; [unrolled: 1-line block ×10, first 2 shown]
	v_mov_b32_e32 v6, 0x3c0881c4
	v_mov_b32_e32 v7, 0xbab64f3b
	s_movk_i32 s30, 0x1f8
	v_mov_b32_e32 v8, 0
	v_mov_b32_e32 v3, 0
	v_not_b32_e32 v9, 63
	v_not_b32_e32 v10, 31
	v_mov_b32_e32 v11, 0x7fc00000
	s_mov_b32 s31, s9
                                        ; implicit-def: $vgpr2
                                        ; implicit-def: $vgpr2
	;; [unrolled: 1-line block ×3, first 2 shown]
                                        ; implicit-def: $vgpr110
                                        ; implicit-def: $vgpr108
                                        ; implicit-def: $vgpr112
                                        ; implicit-def: $vgpr89
                                        ; implicit-def: $vgpr85
	s_branch .LBB3_2
.LBB3_1:                                ;   in Loop: Header=BB3_2 Depth=1
	s_or_b64 exec, exec, s[2:3]
	v_mul_f32_e32 v27, v26, v26
	v_fmamk_f32 v28, v27, 0xb94c1982, v6
	v_fmaak_f32 v28, v27, v28, 0xbe2aaa9d
	v_mul_f32_e32 v28, v27, v28
	v_fmac_f32_e32 v26, v26, v28
	v_fmamk_f32 v28, v27, 0x37d75334, v7
	v_fmaak_f32 v28, v27, v28, 0x3d2aabf7
	v_fmaak_f32 v28, v27, v28, 0xbf000004
	v_fma_f32 v27, v27, v28, 1.0
	v_and_b32_e32 v28, 1, v25
	v_lshlrev_b32_e32 v25, 30, v25
	v_cmp_eq_u32_e32 vcc, 0, v28
	v_and_b32_e32 v25, 0x80000000, v25
	v_xor_b32_e32 v23, v23, v22
	v_cndmask_b32_e32 v26, v27, v26, vcc
	v_xor_b32_e32 v23, v23, v25
	v_xor_b32_e32 v23, v23, v26
	v_cmp_class_f32_e64 vcc, v22, s30
	v_mul_f32_e32 v22, v21, v21
	v_mul_f32_e32 v25, v20, v20
	v_cndmask_b32_e32 v28, v11, v23, vcc
	v_fmamk_f32 v23, v22, 0xb94c1982, v6
	v_fmaak_f32 v23, v22, v23, 0xbe2aaa9d
	v_mul_f32_e32 v23, v22, v23
	v_fmac_f32_e32 v21, v21, v23
	v_fmamk_f32 v23, v22, 0x37d75334, v7
	v_fmaak_f32 v23, v22, v23, 0x3d2aabf7
	v_fmaak_f32 v23, v22, v23, 0xbf000004
	v_fma_f32 v22, v22, v23, 1.0
	v_and_b32_e32 v23, 1, v4
	v_cmp_eq_u32_e64 s[2:3], 0, v23
	v_lshlrev_b32_e32 v4, 30, v4
	v_and_b32_e32 v4, 0x80000000, v4
	v_cndmask_b32_e64 v21, -v21, v22, s[2:3]
	v_xor_b32_e32 v4, v4, v21
	v_fmamk_f32 v21, v25, 0xb94c1982, v6
	v_fmaak_f32 v21, v25, v21, 0xbe2aaa9d
	v_lshl_add_u64 v[22:23], s[46:47], 0, v[0:1]
	v_mul_f32_e32 v26, v25, v21
	global_load_dword v21, v[22:23], off
	v_fmamk_f32 v22, v25, 0x37d75334, v7
	v_fmaak_f32 v22, v25, v22, 0x3d2aabf7
	v_fmaak_f32 v22, v25, v22, 0xbf000004
	v_fmac_f32_e32 v20, v20, v26
	v_fma_f32 v25, v25, v22, 1.0
	v_and_b32_e32 v26, 1, v19
	v_lshl_add_u64 v[22:23], s[48:49], 0, v[0:1]
	global_load_dword v23, v[22:23], off
	v_cmp_eq_u32_e64 s[4:5], 0, v26
	v_lshl_add_u64 v[26:27], s[50:51], 0, v[0:1]
	v_lshlrev_b32_e32 v19, 30, v19
	v_cndmask_b32_e64 v20, v25, v20, s[4:5]
	global_load_dword v25, v[26:27], off
	v_cmp_class_f32_e64 s[2:3], v17, s30
	v_and_b32_e32 v19, 0x80000000, v19
	v_xor_b32_e32 v17, v18, v17
	v_mul_f32_e32 v18, v16, v16
	v_xor_b32_e32 v17, v17, v19
	v_fmamk_f32 v19, v18, 0xb94c1982, v6
	v_fmaak_f32 v19, v18, v19, 0xbe2aaa9d
	v_mul_f32_e32 v19, v18, v19
	v_fmac_f32_e32 v16, v16, v19
	v_fmamk_f32 v19, v18, 0x37d75334, v7
	v_fmaak_f32 v19, v18, v19, 0x3d2aabf7
	v_fmaak_f32 v19, v18, v19, 0xbf000004
	v_xor_b32_e32 v17, v17, v20
	v_fma_f32 v18, v18, v19, 1.0
	v_and_b32_e32 v19, 1, v15
	v_cndmask_b32_e64 v4, v11, v4, s[2:3]
	v_cndmask_b32_e64 v17, v11, v17, s[2:3]
	v_cmp_eq_u32_e64 s[2:3], 0, v19
	v_lshlrev_b32_e32 v15, 30, v15
	v_and_b32_e32 v15, 0x80000000, v15
	v_cndmask_b32_e64 v16, -v16, v18, s[2:3]
	v_xor_b32_e32 v15, v15, v16
	v_mul_f32_e32 v16, v14, v14
	v_fmamk_f32 v18, v16, 0xb94c1982, v6
	v_fmaak_f32 v18, v16, v18, 0xbe2aaa9d
	v_mul_f32_e32 v18, v16, v18
	v_fmac_f32_e32 v14, v14, v18
	v_fmamk_f32 v18, v16, 0x37d75334, v7
	v_fmaak_f32 v18, v16, v18, 0x3d2aabf7
	v_fmaak_f32 v18, v16, v18, 0xbf000004
	v_fma_f32 v16, v16, v18, 1.0
	v_and_b32_e32 v18, 1, v13
	v_lshlrev_b32_e32 v13, 30, v13
	v_cmp_class_f32_e64 s[2:3], v5, s30
	v_cmp_eq_u32_e64 s[4:5], 0, v18
	v_and_b32_e32 v13, 0x80000000, v13
	v_xor_b32_e32 v5, v12, v5
	v_cndmask_b32_e64 v14, v16, v14, s[4:5]
	v_xor_b32_e32 v5, v5, v13
	v_xor_b32_e32 v5, v5, v14
	v_cndmask_b32_e64 v14, v11, v5, s[2:3]
	v_mul_f32_e32 v5, v24, v24
	v_fmamk_f32 v12, v5, 0xb94c1982, v6
	v_fmaak_f32 v12, v5, v12, 0xbe2aaa9d
	v_mul_f32_e32 v12, v5, v12
	v_fmac_f32_e32 v24, v24, v12
	v_fmamk_f32 v12, v5, 0x37d75334, v7
	v_fmaak_f32 v12, v5, v12, 0x3d2aabf7
	v_fmaak_f32 v12, v5, v12, 0xbf000004
	v_fma_f32 v5, v5, v12, 1.0
	v_and_b32_e32 v12, 1, v2
	v_cndmask_b32_e64 v15, v11, v15, s[2:3]
	v_cmp_eq_u32_e64 s[2:3], 0, v12
	v_lshlrev_b32_e32 v2, 30, v2
	v_and_b32_e32 v2, 0x80000000, v2
	v_cndmask_b32_e64 v5, -v24, v5, s[2:3]
	s_add_i32 s2, s31, 0
	v_xor_b32_e32 v2, v2, v5
	s_cmp_lg_u32 s10, 0
	v_cndmask_b32_e32 v12, v11, v2, vcc
	s_cselect_b64 vcc, -1, 0
	s_cmp_lg_u32 s10, 1
	v_cndmask_b32_e32 v110, 0, v110, vcc
	s_cselect_b64 vcc, -1, 0
	;; [unrolled: 3-line block ×4, first 2 shown]
	s_cmp_lg_u32 s10, 4
	v_mul_f32_e32 v16, v14, v17
	v_cndmask_b32_e32 v109, 0, v109, vcc
	s_cselect_b64 vcc, -1, 0
	s_cmp_lg_u32 s10, 5
	v_mul_f32_e32 v5, v16, v12
	v_mul_f32_e32 v13, v15, v28
	;; [unrolled: 1-line block ×3, first 2 shown]
	v_cndmask_b32_e32 v112, 0, v112, vcc
	s_cselect_b64 vcc, -1, 0
	s_cmp_lg_u32 s10, 6
	v_pk_add_f32 v[18:19], v[4:5], v[12:13] neg_lo:[0,1] neg_hi:[0,1]
	v_mul_f32_e32 v20, v22, v12
	v_cndmask_b32_e32 v113, 0, v113, vcc
	s_cselect_b64 vcc, -1, 0
	s_cmp_lg_u32 s10, 7
	v_add_u32_e32 v2, s31, v8
	v_fmac_f32_e32 v20, v14, v28
	v_mul_f32_e32 v18, v4, v12
	v_mul_f32_e32 v5, v16, v28
	;; [unrolled: 1-line block ×3, first 2 shown]
	v_cndmask_b32_e32 v89, 0, v89, vcc
	s_cselect_b64 vcc, -1, 0
	s_add_i32 s31, s31, 48
	s_waitcnt vmcnt(2)
	scratch_store_dwordx4 off, v[18:21], s2
	s_add_u32 s10, s10, 1
	s_addc_u32 s11, s11, 0
	v_pk_add_f32 v[20:21], v[4:5], v[12:13]
	v_mul_f32_e32 v5, v14, v12
	v_add_u32_e32 v18, 16, v2
	v_fma_f32 v22, v22, v28, -v5
	v_mul_f32_e32 v20, v4, v28
	v_pk_mul_f32 v[4:5], v[14:15], v[4:5] op_sel_hi:[1,0]
	s_waitcnt vmcnt(2)
	scratch_store_dwordx4 v18, v[20:23], off
	v_add_u32_e32 v2, 32, v2
	v_mov_b32_e32 v24, v5
	v_xor_b32_e32 v22, 0x80000000, v17
	v_mov_b32_e32 v23, v4
	v_cndmask_b32_e32 v85, 0, v85, vcc
	s_cmpk_lg_i32 s31, 0x180
	v_lshl_add_u64 v[0:1], v[0:1], 0, s[8:9]
	s_waitcnt vmcnt(2)
	scratch_store_dwordx4 v2, v[22:25], off
	s_cbranch_scc0 .LBB3_26
.LBB3_2:                                ; =>This Inner Loop Header: Depth=1
	v_lshl_add_u64 v[4:5], s[40:41], 0, v[0:1]
	global_load_dword v5, v[4:5], off
                                        ; implicit-def: $vgpr13
                                        ; implicit-def: $vgpr14
	s_waitcnt vmcnt(0)
	v_and_b32_e32 v12, 0x7fffffff, v5
	v_lshrrev_b32_e32 v2, 23, v12
	v_and_b32_e32 v4, 0x7fffff, v12
	v_cmp_nlt_f32_e64 s[14:15], |v5|, s18
	v_add_u32_e32 v17, 0xffffff88, v2
	v_or_b32_e32 v4, 0x800000, v4
	s_and_saveexec_b64 s[2:3], s[14:15]
	s_xor_b64 s[16:17], exec, s[2:3]
	s_cbranch_execz .LBB3_4
; %bb.3:                                ;   in Loop: Header=BB3_2 Depth=1
	v_cmp_lt_u32_e32 vcc, 63, v17
	v_mad_u64_u32 v[14:15], s[6:7], v4, s19, 0
	s_nop 0
	v_cndmask_b32_e32 v2, 0, v9, vcc
	v_add_u32_e32 v2, v2, v17
	v_cmp_lt_u32_e64 s[2:3], 31, v2
	s_nop 1
	v_cndmask_b32_e64 v13, 0, v10, s[2:3]
	v_add_u32_e32 v2, v13, v2
	v_cmp_lt_u32_e64 s[4:5], 31, v2
	s_nop 1
	v_cndmask_b32_e64 v13, 0, v10, s[4:5]
	v_add_u32_e32 v13, v13, v2
	v_mov_b32_e32 v2, v15
	v_mad_u64_u32 v[18:19], s[6:7], v4, s20, v[2:3]
	v_mov_b32_e32 v2, v19
	v_mad_u64_u32 v[20:21], s[6:7], v4, s21, v[2:3]
	;; [unrolled: 2-line block ×6, first 2 shown]
	v_cndmask_b32_e32 v15, v26, v22, vcc
	v_cndmask_b32_e32 v2, v28, v24, vcc
	v_cndmask_b32_e32 v19, v29, v26, vcc
	v_cndmask_b32_e64 v16, v2, v15, s[2:3]
	v_cndmask_b32_e64 v2, v19, v2, s[2:3]
	v_cndmask_b32_e32 v19, v24, v20, vcc
	v_cndmask_b32_e64 v15, v15, v19, s[2:3]
	v_sub_u32_e32 v21, 32, v13
	v_cmp_eq_u32_e64 s[6:7], 0, v13
	v_cndmask_b32_e32 v13, v22, v18, vcc
	v_cndmask_b32_e64 v2, v2, v16, s[4:5]
	v_cndmask_b32_e64 v16, v16, v15, s[4:5]
	;; [unrolled: 1-line block ×3, first 2 shown]
	v_alignbit_b32 v23, v2, v16, v21
	v_cndmask_b32_e64 v15, v15, v18, s[4:5]
	v_cndmask_b32_e32 v14, v20, v14, vcc
	v_cndmask_b32_e64 v2, v23, v2, s[6:7]
	v_alignbit_b32 v19, v16, v15, v21
	v_cndmask_b32_e64 v13, v13, v14, s[2:3]
	v_cndmask_b32_e64 v16, v19, v16, s[6:7]
	v_bfe_u32 v23, v2, 29, 1
	v_cndmask_b32_e64 v13, v18, v13, s[4:5]
	v_alignbit_b32 v19, v2, v16, 30
	v_sub_u32_e32 v24, 0, v23
	v_alignbit_b32 v14, v15, v13, v21
	v_xor_b32_e32 v25, v19, v24
	v_cndmask_b32_e64 v14, v14, v15, s[6:7]
	v_alignbit_b32 v15, v16, v14, 30
	v_ffbh_u32_e32 v16, v25
	v_add_u32_e32 v16, 1, v16
	v_cmp_ne_u32_e32 vcc, v19, v24
	v_alignbit_b32 v13, v14, v13, 30
	v_xor_b32_e32 v15, v15, v24
	v_cndmask_b32_e32 v16, 33, v16, vcc
	v_sub_u32_e32 v18, 32, v16
	v_xor_b32_e32 v13, v13, v24
	v_alignbit_b32 v19, v25, v15, v18
	v_alignbit_b32 v13, v15, v13, v18
	;; [unrolled: 1-line block ×3, first 2 shown]
	v_ffbh_u32_e32 v15, v14
	v_min_u32_e32 v15, 32, v15
	v_lshrrev_b32_e32 v22, 29, v2
	v_sub_u32_e32 v18, 31, v15
	v_alignbit_b32 v13, v14, v13, v18
	v_lshlrev_b32_e32 v14, 31, v22
	v_or_b32_e32 v18, 0x33800000, v14
	v_add_lshl_u32 v15, v15, v16, 23
	v_lshrrev_b32_e32 v13, 9, v13
	v_sub_u32_e32 v15, v18, v15
	v_or_b32_e32 v13, v15, v13
	v_alignbit_b32 v15, v16, v19, 9
	v_or_b32_e32 v14, v15, v14
	v_xor_b32_e32 v14, 1.0, v14
	v_mul_f32_e32 v15, 0x3fc90fda, v14
	v_fma_f32 v16, v14, s26, -v15
	v_fmac_f32_e32 v16, 0x33a22168, v14
	v_fmac_f32_e32 v16, 0x3fc90fda, v13
	v_lshrrev_b32_e32 v2, 30, v2
	v_add_f32_e32 v14, v15, v16
	v_add_u32_e32 v13, v23, v2
.LBB3_4:                                ;   in Loop: Header=BB3_2 Depth=1
	s_or_saveexec_b64 s[2:3], s[16:17]
	v_mul_f32_e64 v2, |v5|, s28
	v_rndne_f32_e32 v2, v2
	s_xor_b64 exec, exec, s[2:3]
; %bb.5:                                ;   in Loop: Header=BB3_2 Depth=1
	v_cvt_i32_f32_e32 v13, v2
	v_fma_f32 v14, v2, s29, |v5|
	v_fmac_f32_e32 v14, 0xb3a22168, v2
	v_fmac_f32_e32 v14, 0xa7c234c4, v2
; %bb.6:                                ;   in Loop: Header=BB3_2 Depth=1
	s_or_b64 exec, exec, s[2:3]
                                        ; implicit-def: $vgpr15
                                        ; implicit-def: $vgpr16
	s_and_saveexec_b64 s[2:3], s[14:15]
	s_xor_b64 s[14:15], exec, s[2:3]
	s_cbranch_execz .LBB3_8
; %bb.7:                                ;   in Loop: Header=BB3_2 Depth=1
	v_cmp_lt_u32_e32 vcc, 63, v17
	s_nop 1
	v_cndmask_b32_e32 v2, 0, v9, vcc
	v_add_u32_e32 v2, v2, v17
	v_cmp_lt_u32_e64 s[2:3], 31, v2
	v_mad_u64_u32 v[16:17], s[6:7], v4, s19, 0
	s_nop 0
	v_cndmask_b32_e64 v15, 0, v10, s[2:3]
	v_add_u32_e32 v2, v15, v2
	v_cmp_lt_u32_e64 s[4:5], 31, v2
	s_nop 1
	v_cndmask_b32_e64 v15, 0, v10, s[4:5]
	v_add_u32_e32 v15, v15, v2
	v_mov_b32_e32 v2, v17
	v_mad_u64_u32 v[18:19], s[6:7], v4, s20, v[2:3]
	v_mov_b32_e32 v2, v19
	v_mad_u64_u32 v[20:21], s[6:7], v4, s21, v[2:3]
	;; [unrolled: 2-line block ×6, first 2 shown]
	v_cndmask_b32_e32 v17, v26, v22, vcc
	v_cndmask_b32_e32 v2, v28, v24, vcc
	;; [unrolled: 1-line block ×3, first 2 shown]
	v_cndmask_b32_e64 v4, v2, v17, s[2:3]
	v_cndmask_b32_e64 v2, v19, v2, s[2:3]
	v_cndmask_b32_e32 v19, v24, v20, vcc
	v_cndmask_b32_e64 v17, v17, v19, s[2:3]
	v_sub_u32_e32 v21, 32, v15
	v_cmp_eq_u32_e64 s[6:7], 0, v15
	v_cndmask_b32_e32 v15, v22, v18, vcc
	v_cndmask_b32_e64 v2, v2, v4, s[4:5]
	v_cndmask_b32_e64 v4, v4, v17, s[4:5]
	v_cndmask_b32_e64 v18, v19, v15, s[2:3]
	v_alignbit_b32 v23, v2, v4, v21
	v_cndmask_b32_e64 v17, v17, v18, s[4:5]
	v_cndmask_b32_e64 v2, v23, v2, s[6:7]
	v_alignbit_b32 v19, v4, v17, v21
	v_cndmask_b32_e32 v16, v20, v16, vcc
	v_cndmask_b32_e64 v4, v19, v4, s[6:7]
	v_bfe_u32 v23, v2, 29, 1
	v_cndmask_b32_e64 v15, v15, v16, s[2:3]
	v_alignbit_b32 v19, v2, v4, 30
	v_sub_u32_e32 v24, 0, v23
	v_cndmask_b32_e64 v15, v18, v15, s[4:5]
	v_xor_b32_e32 v25, v19, v24
	v_alignbit_b32 v16, v17, v15, v21
	v_cndmask_b32_e64 v16, v16, v17, s[6:7]
	v_ffbh_u32_e32 v17, v25
	v_add_u32_e32 v17, 1, v17
	v_cmp_ne_u32_e32 vcc, v19, v24
	v_alignbit_b32 v4, v4, v16, 30
	v_alignbit_b32 v15, v16, v15, 30
	v_cndmask_b32_e32 v17, 33, v17, vcc
	v_xor_b32_e32 v4, v4, v24
	v_sub_u32_e32 v18, 32, v17
	v_xor_b32_e32 v15, v15, v24
	v_alignbit_b32 v19, v25, v4, v18
	v_alignbit_b32 v4, v4, v15, v18
	;; [unrolled: 1-line block ×3, first 2 shown]
	v_ffbh_u32_e32 v16, v15
	v_min_u32_e32 v16, 32, v16
	v_lshrrev_b32_e32 v22, 29, v2
	v_sub_u32_e32 v18, 31, v16
	v_alignbit_b32 v4, v15, v4, v18
	v_lshlrev_b32_e32 v15, 31, v22
	v_or_b32_e32 v18, 0x33800000, v15
	v_add_lshl_u32 v16, v16, v17, 23
	v_lshrrev_b32_e32 v4, 9, v4
	v_sub_u32_e32 v16, v18, v16
	v_or_b32_e32 v4, v16, v4
	v_alignbit_b32 v16, v17, v19, 9
	v_or_b32_e32 v15, v16, v15
	v_xor_b32_e32 v15, 1.0, v15
	v_mul_f32_e32 v16, 0x3fc90fda, v15
	v_fma_f32 v17, v15, s26, -v16
	v_fmac_f32_e32 v17, 0x33a22168, v15
	v_fmac_f32_e32 v17, 0x3fc90fda, v4
	v_lshrrev_b32_e32 v2, 30, v2
	v_add_f32_e32 v16, v16, v17
	v_add_u32_e32 v15, v23, v2
                                        ; implicit-def: $vgpr2
	s_andn2_saveexec_b64 s[2:3], s[14:15]
	s_cbranch_execnz .LBB3_9
	s_branch .LBB3_10
.LBB3_8:                                ;   in Loop: Header=BB3_2 Depth=1
	s_andn2_saveexec_b64 s[2:3], s[14:15]
.LBB3_9:                                ;   in Loop: Header=BB3_2 Depth=1
	v_cvt_i32_f32_e32 v15, v2
	v_fma_f32 v16, v2, s29, |v5|
	v_fmac_f32_e32 v16, 0xb3a22168, v2
	v_fmac_f32_e32 v16, 0xa7c234c4, v2
.LBB3_10:                               ;   in Loop: Header=BB3_2 Depth=1
	s_or_b64 exec, exec, s[2:3]
	v_lshl_add_u64 v[18:19], s[42:43], 0, v[0:1]
	global_load_dword v17, v[18:19], off
                                        ; implicit-def: $vgpr19
                                        ; implicit-def: $vgpr20
	s_waitcnt vmcnt(0)
	v_and_b32_e32 v18, 0x7fffffff, v17
	v_lshrrev_b32_e32 v2, 23, v18
	v_and_b32_e32 v4, 0x7fffff, v18
	v_cmp_nlt_f32_e64 s[14:15], |v17|, s18
	v_add_u32_e32 v23, 0xffffff88, v2
	v_or_b32_e32 v22, 0x800000, v4
	s_and_saveexec_b64 s[2:3], s[14:15]
	s_xor_b64 s[16:17], exec, s[2:3]
	s_cbranch_execz .LBB3_12
; %bb.11:                               ;   in Loop: Header=BB3_2 Depth=1
	v_cmp_lt_u32_e32 vcc, 63, v23
	v_mad_u64_u32 v[20:21], s[6:7], v22, s19, 0
	s_nop 0
	v_cndmask_b32_e32 v2, 0, v9, vcc
	v_add_u32_e32 v2, v2, v23
	v_cmp_lt_u32_e64 s[2:3], 31, v2
	s_nop 1
	v_cndmask_b32_e64 v4, 0, v10, s[2:3]
	v_add_u32_e32 v2, v4, v2
	v_cmp_lt_u32_e64 s[4:5], 31, v2
	s_nop 1
	v_cndmask_b32_e64 v4, 0, v10, s[4:5]
	v_add_u32_e32 v4, v4, v2
	v_mov_b32_e32 v2, v21
	v_mad_u64_u32 v[24:25], s[6:7], v22, s20, v[2:3]
	v_mov_b32_e32 v2, v25
	v_mad_u64_u32 v[26:27], s[6:7], v22, s21, v[2:3]
	;; [unrolled: 2-line block ×6, first 2 shown]
	v_cndmask_b32_e32 v19, v32, v28, vcc
	v_cndmask_b32_e32 v2, v34, v30, vcc
	;; [unrolled: 1-line block ×3, first 2 shown]
	v_cndmask_b32_e64 v21, v2, v19, s[2:3]
	v_cndmask_b32_e64 v2, v25, v2, s[2:3]
	v_cndmask_b32_e32 v25, v30, v26, vcc
	v_cndmask_b32_e64 v19, v19, v25, s[2:3]
	v_sub_u32_e32 v27, 32, v4
	v_cmp_eq_u32_e64 s[6:7], 0, v4
	v_cndmask_b32_e32 v4, v28, v24, vcc
	v_cndmask_b32_e64 v2, v2, v21, s[4:5]
	v_cndmask_b32_e64 v21, v21, v19, s[4:5]
	;; [unrolled: 1-line block ×3, first 2 shown]
	v_alignbit_b32 v29, v2, v21, v27
	v_cndmask_b32_e64 v19, v19, v24, s[4:5]
	v_cndmask_b32_e32 v20, v26, v20, vcc
	v_cndmask_b32_e64 v2, v29, v2, s[6:7]
	v_alignbit_b32 v25, v21, v19, v27
	v_cndmask_b32_e64 v4, v4, v20, s[2:3]
	v_cndmask_b32_e64 v21, v25, v21, s[6:7]
	v_bfe_u32 v29, v2, 29, 1
	v_cndmask_b32_e64 v4, v24, v4, s[4:5]
	v_alignbit_b32 v25, v2, v21, 30
	v_sub_u32_e32 v30, 0, v29
	v_alignbit_b32 v20, v19, v4, v27
	v_xor_b32_e32 v31, v25, v30
	v_cndmask_b32_e64 v19, v20, v19, s[6:7]
	v_alignbit_b32 v20, v21, v19, 30
	v_ffbh_u32_e32 v21, v31
	v_add_u32_e32 v21, 1, v21
	v_cmp_ne_u32_e32 vcc, v25, v30
	v_alignbit_b32 v4, v19, v4, 30
	v_xor_b32_e32 v20, v20, v30
	v_cndmask_b32_e32 v21, 33, v21, vcc
	v_sub_u32_e32 v24, 32, v21
	v_xor_b32_e32 v4, v4, v30
	v_alignbit_b32 v25, v31, v20, v24
	v_alignbit_b32 v4, v20, v4, v24
	;; [unrolled: 1-line block ×3, first 2 shown]
	v_ffbh_u32_e32 v20, v19
	v_min_u32_e32 v20, 32, v20
	v_lshrrev_b32_e32 v28, 29, v2
	v_sub_u32_e32 v24, 31, v20
	v_alignbit_b32 v4, v19, v4, v24
	v_lshlrev_b32_e32 v19, 31, v28
	v_or_b32_e32 v24, 0x33800000, v19
	v_add_lshl_u32 v20, v20, v21, 23
	v_lshrrev_b32_e32 v4, 9, v4
	v_sub_u32_e32 v20, v24, v20
	v_or_b32_e32 v4, v20, v4
	v_alignbit_b32 v20, v21, v25, 9
	v_or_b32_e32 v19, v20, v19
	v_xor_b32_e32 v19, 1.0, v19
	v_mul_f32_e32 v20, 0x3fc90fda, v19
	v_fma_f32 v21, v19, s26, -v20
	v_fmac_f32_e32 v21, 0x33a22168, v19
	v_fmac_f32_e32 v21, 0x3fc90fda, v4
	v_lshrrev_b32_e32 v2, 30, v2
	v_add_f32_e32 v20, v20, v21
	v_add_u32_e32 v19, v29, v2
.LBB3_12:                               ;   in Loop: Header=BB3_2 Depth=1
	s_or_saveexec_b64 s[2:3], s[16:17]
	v_mul_f32_e64 v2, |v17|, s28
	v_rndne_f32_e32 v2, v2
	s_xor_b64 exec, exec, s[2:3]
; %bb.13:                               ;   in Loop: Header=BB3_2 Depth=1
	v_cvt_i32_f32_e32 v19, v2
	v_fma_f32 v20, v2, s29, |v17|
	v_fmac_f32_e32 v20, 0xb3a22168, v2
	v_fmac_f32_e32 v20, 0xa7c234c4, v2
; %bb.14:                               ;   in Loop: Header=BB3_2 Depth=1
	s_or_b64 exec, exec, s[2:3]
                                        ; implicit-def: $vgpr4
                                        ; implicit-def: $vgpr21
	s_and_saveexec_b64 s[2:3], s[14:15]
	s_xor_b64 s[14:15], exec, s[2:3]
	s_cbranch_execz .LBB3_16
; %bb.15:                               ;   in Loop: Header=BB3_2 Depth=1
	v_cmp_lt_u32_e32 vcc, 63, v23
	v_mad_u64_u32 v[24:25], s[6:7], v22, s19, 0
	s_nop 0
	v_cndmask_b32_e32 v2, 0, v9, vcc
	v_add_u32_e32 v2, v2, v23
	v_cmp_lt_u32_e64 s[2:3], 31, v2
	s_nop 1
	v_cndmask_b32_e64 v4, 0, v10, s[2:3]
	v_add_u32_e32 v2, v4, v2
	v_cmp_lt_u32_e64 s[4:5], 31, v2
	s_nop 1
	v_cndmask_b32_e64 v4, 0, v10, s[4:5]
	v_add_u32_e32 v4, v4, v2
	v_mov_b32_e32 v2, v25
	v_mad_u64_u32 v[26:27], s[6:7], v22, s20, v[2:3]
	v_mov_b32_e32 v2, v27
	v_mad_u64_u32 v[28:29], s[6:7], v22, s21, v[2:3]
	;; [unrolled: 2-line block ×6, first 2 shown]
	v_cndmask_b32_e32 v21, v34, v30, vcc
	v_cndmask_b32_e32 v2, v22, v32, vcc
	v_cndmask_b32_e32 v23, v23, v34, vcc
	v_cndmask_b32_e64 v22, v2, v21, s[2:3]
	v_cndmask_b32_e64 v2, v23, v2, s[2:3]
	v_cndmask_b32_e32 v23, v32, v28, vcc
	v_cndmask_b32_e64 v21, v21, v23, s[2:3]
	v_sub_u32_e32 v25, 32, v4
	v_cmp_eq_u32_e64 s[6:7], 0, v4
	v_cndmask_b32_e32 v4, v30, v26, vcc
	v_cndmask_b32_e64 v2, v2, v22, s[4:5]
	v_cndmask_b32_e64 v22, v22, v21, s[4:5]
	;; [unrolled: 1-line block ×3, first 2 shown]
	v_alignbit_b32 v27, v2, v22, v25
	v_cndmask_b32_e64 v21, v21, v23, s[4:5]
	v_cndmask_b32_e64 v2, v27, v2, s[6:7]
	v_alignbit_b32 v26, v22, v21, v25
	v_cndmask_b32_e32 v24, v28, v24, vcc
	v_cndmask_b32_e64 v22, v26, v22, s[6:7]
	v_bfe_u32 v29, v2, 29, 1
	v_cndmask_b32_e64 v4, v4, v24, s[2:3]
	v_alignbit_b32 v26, v2, v22, 30
	v_sub_u32_e32 v30, 0, v29
	v_cndmask_b32_e64 v4, v23, v4, s[4:5]
	v_xor_b32_e32 v31, v26, v30
	v_alignbit_b32 v23, v21, v4, v25
	v_cndmask_b32_e64 v21, v23, v21, s[6:7]
	v_ffbh_u32_e32 v23, v31
	v_add_u32_e32 v23, 1, v23
	v_cmp_ne_u32_e32 vcc, v26, v30
	v_alignbit_b32 v22, v22, v21, 30
	v_alignbit_b32 v4, v21, v4, 30
	v_cndmask_b32_e32 v23, 33, v23, vcc
	v_xor_b32_e32 v22, v22, v30
	v_sub_u32_e32 v24, 32, v23
	v_xor_b32_e32 v4, v4, v30
	v_alignbit_b32 v25, v31, v22, v24
	v_alignbit_b32 v4, v22, v4, v24
	;; [unrolled: 1-line block ×3, first 2 shown]
	v_ffbh_u32_e32 v22, v21
	v_min_u32_e32 v22, 32, v22
	v_lshrrev_b32_e32 v27, 29, v2
	v_sub_u32_e32 v24, 31, v22
	v_alignbit_b32 v4, v21, v4, v24
	v_lshlrev_b32_e32 v21, 31, v27
	v_or_b32_e32 v24, 0x33800000, v21
	v_add_lshl_u32 v22, v22, v23, 23
	v_lshrrev_b32_e32 v4, 9, v4
	v_sub_u32_e32 v22, v24, v22
	v_or_b32_e32 v4, v22, v4
	v_alignbit_b32 v22, v23, v25, 9
	v_or_b32_e32 v21, v22, v21
	v_xor_b32_e32 v21, 1.0, v21
	v_mul_f32_e32 v22, 0x3fc90fda, v21
	v_fma_f32 v23, v21, s26, -v22
	v_fmac_f32_e32 v23, 0x33a22168, v21
	v_fmac_f32_e32 v23, 0x3fc90fda, v4
	v_lshrrev_b32_e32 v2, 30, v2
	v_add_f32_e32 v21, v22, v23
	v_add_u32_e32 v4, v29, v2
                                        ; implicit-def: $vgpr2
	s_andn2_saveexec_b64 s[2:3], s[14:15]
	s_cbranch_execnz .LBB3_17
	s_branch .LBB3_18
.LBB3_16:                               ;   in Loop: Header=BB3_2 Depth=1
	s_andn2_saveexec_b64 s[2:3], s[14:15]
.LBB3_17:                               ;   in Loop: Header=BB3_2 Depth=1
	v_cvt_i32_f32_e32 v4, v2
	v_fma_f32 v21, v2, s29, |v17|
	v_fmac_f32_e32 v21, 0xb3a22168, v2
	v_fmac_f32_e32 v21, 0xa7c234c4, v2
.LBB3_18:                               ;   in Loop: Header=BB3_2 Depth=1
	s_or_b64 exec, exec, s[2:3]
	v_lshl_add_u64 v[22:23], s[44:45], 0, v[0:1]
	global_load_dword v22, v[22:23], off
                                        ; implicit-def: $vgpr25
                                        ; implicit-def: $vgpr26
	s_waitcnt vmcnt(0)
	v_and_b32_e32 v23, 0x7fffffff, v22
	v_lshrrev_b32_e32 v2, 23, v23
	v_and_b32_e32 v24, 0x7fffff, v23
	v_cmp_nlt_f32_e64 s[14:15], |v22|, s18
	v_add_u32_e32 v28, 0xffffff88, v2
	v_or_b32_e32 v27, 0x800000, v24
	s_and_saveexec_b64 s[2:3], s[14:15]
	s_xor_b64 s[16:17], exec, s[2:3]
	s_cbranch_execz .LBB3_20
; %bb.19:                               ;   in Loop: Header=BB3_2 Depth=1
	v_cmp_lt_u32_e32 vcc, 63, v28
	s_nop 1
	v_cndmask_b32_e32 v2, 0, v9, vcc
	v_add_u32_e32 v2, v2, v28
	v_cmp_lt_u32_e64 s[2:3], 31, v2
	s_nop 1
	v_cndmask_b32_e64 v24, 0, v10, s[2:3]
	v_add_u32_e32 v2, v24, v2
	v_cmp_lt_u32_e64 s[4:5], 31, v2
	s_nop 1
	v_cndmask_b32_e64 v24, 0, v10, s[4:5]
	v_add_u32_e32 v26, v24, v2
	v_mad_u64_u32 v[24:25], s[6:7], v27, s19, 0
	v_mov_b32_e32 v2, v25
	v_mad_u64_u32 v[30:31], s[6:7], v27, s20, v[2:3]
	v_mov_b32_e32 v2, v31
	;; [unrolled: 2-line block ×6, first 2 shown]
	v_mad_u64_u32 v[40:41], s[6:7], v27, s25, v[2:3]
	v_cndmask_b32_e32 v25, v38, v34, vcc
	v_cndmask_b32_e32 v2, v40, v36, vcc
	;; [unrolled: 1-line block ×3, first 2 shown]
	v_cndmask_b32_e64 v29, v2, v25, s[2:3]
	v_cndmask_b32_e64 v2, v31, v2, s[2:3]
	v_cndmask_b32_e32 v31, v36, v32, vcc
	v_cndmask_b32_e64 v25, v25, v31, s[2:3]
	v_sub_u32_e32 v33, 32, v26
	v_cmp_eq_u32_e64 s[6:7], 0, v26
	v_cndmask_b32_e32 v26, v34, v30, vcc
	v_cndmask_b32_e64 v2, v2, v29, s[4:5]
	v_cndmask_b32_e64 v29, v29, v25, s[4:5]
	v_cndmask_b32_e64 v30, v31, v26, s[2:3]
	v_alignbit_b32 v35, v2, v29, v33
	v_cndmask_b32_e64 v25, v25, v30, s[4:5]
	v_cndmask_b32_e32 v24, v32, v24, vcc
	v_cndmask_b32_e64 v2, v35, v2, s[6:7]
	v_alignbit_b32 v31, v29, v25, v33
	v_cndmask_b32_e64 v24, v26, v24, s[2:3]
	v_cndmask_b32_e64 v29, v31, v29, s[6:7]
	v_bfe_u32 v35, v2, 29, 1
	v_cndmask_b32_e64 v24, v30, v24, s[4:5]
	v_alignbit_b32 v31, v2, v29, 30
	v_sub_u32_e32 v36, 0, v35
	v_alignbit_b32 v26, v25, v24, v33
	v_xor_b32_e32 v37, v31, v36
	v_cndmask_b32_e64 v25, v26, v25, s[6:7]
	v_alignbit_b32 v26, v29, v25, 30
	v_ffbh_u32_e32 v29, v37
	v_add_u32_e32 v29, 1, v29
	v_cmp_ne_u32_e32 vcc, v31, v36
	v_alignbit_b32 v24, v25, v24, 30
	v_xor_b32_e32 v26, v26, v36
	v_cndmask_b32_e32 v29, 33, v29, vcc
	v_sub_u32_e32 v30, 32, v29
	v_xor_b32_e32 v24, v24, v36
	v_alignbit_b32 v31, v37, v26, v30
	v_alignbit_b32 v24, v26, v24, v30
	;; [unrolled: 1-line block ×3, first 2 shown]
	v_ffbh_u32_e32 v26, v25
	v_min_u32_e32 v26, 32, v26
	v_lshrrev_b32_e32 v34, 29, v2
	v_sub_u32_e32 v30, 31, v26
	v_alignbit_b32 v24, v25, v24, v30
	v_lshlrev_b32_e32 v25, 31, v34
	v_or_b32_e32 v30, 0x33800000, v25
	v_add_lshl_u32 v26, v26, v29, 23
	v_lshrrev_b32_e32 v24, 9, v24
	v_sub_u32_e32 v26, v30, v26
	v_or_b32_e32 v24, v26, v24
	v_alignbit_b32 v26, v29, v31, 9
	v_or_b32_e32 v25, v26, v25
	v_xor_b32_e32 v25, 1.0, v25
	v_mul_f32_e32 v26, 0x3fc90fda, v25
	v_fma_f32 v29, v25, s26, -v26
	v_fmac_f32_e32 v29, 0x33a22168, v25
	v_fmac_f32_e32 v29, 0x3fc90fda, v24
	v_lshrrev_b32_e32 v2, 30, v2
	v_add_f32_e32 v26, v26, v29
	v_add_u32_e32 v25, v35, v2
.LBB3_20:                               ;   in Loop: Header=BB3_2 Depth=1
	s_or_saveexec_b64 s[2:3], s[16:17]
	v_mul_f32_e64 v2, |v22|, s28
	v_rndne_f32_e32 v29, v2
	s_xor_b64 exec, exec, s[2:3]
; %bb.21:                               ;   in Loop: Header=BB3_2 Depth=1
	v_cvt_i32_f32_e32 v25, v29
	v_fma_f32 v26, v29, s29, |v22|
	v_fmac_f32_e32 v26, 0xb3a22168, v29
	v_fmac_f32_e32 v26, 0xa7c234c4, v29
; %bb.22:                               ;   in Loop: Header=BB3_2 Depth=1
	s_or_b64 exec, exec, s[2:3]
                                        ; implicit-def: $vgpr2
                                        ; implicit-def: $vgpr24
	s_and_saveexec_b64 s[2:3], s[14:15]
	s_xor_b64 s[14:15], exec, s[2:3]
	s_cbranch_execz .LBB3_24
; %bb.23:                               ;   in Loop: Header=BB3_2 Depth=1
	v_cmp_lt_u32_e32 vcc, 63, v28
	s_nop 1
	v_cndmask_b32_e32 v2, 0, v9, vcc
	v_add_u32_e32 v2, v2, v28
	v_cmp_lt_u32_e64 s[2:3], 31, v2
	v_mad_u64_u32 v[28:29], s[6:7], v27, s19, 0
	s_nop 0
	v_cndmask_b32_e64 v24, 0, v10, s[2:3]
	v_add_u32_e32 v2, v24, v2
	v_cmp_lt_u32_e64 s[4:5], 31, v2
	s_nop 1
	v_cndmask_b32_e64 v24, 0, v10, s[4:5]
	v_add_u32_e32 v24, v24, v2
	v_mov_b32_e32 v2, v29
	v_mad_u64_u32 v[30:31], s[6:7], v27, s20, v[2:3]
	v_mov_b32_e32 v2, v31
	v_mad_u64_u32 v[32:33], s[6:7], v27, s21, v[2:3]
	;; [unrolled: 2-line block ×6, first 2 shown]
	v_cndmask_b32_e32 v29, v38, v34, vcc
	v_cndmask_b32_e32 v2, v40, v36, vcc
	;; [unrolled: 1-line block ×3, first 2 shown]
	v_cndmask_b32_e64 v27, v2, v29, s[2:3]
	v_cndmask_b32_e64 v2, v31, v2, s[2:3]
	v_cndmask_b32_e32 v31, v36, v32, vcc
	v_cndmask_b32_e64 v29, v29, v31, s[2:3]
	v_sub_u32_e32 v33, 32, v24
	v_cmp_eq_u32_e64 s[6:7], 0, v24
	v_cndmask_b32_e32 v24, v34, v30, vcc
	v_cndmask_b32_e64 v2, v2, v27, s[4:5]
	v_cndmask_b32_e64 v27, v27, v29, s[4:5]
	;; [unrolled: 1-line block ×3, first 2 shown]
	v_alignbit_b32 v35, v2, v27, v33
	v_cndmask_b32_e64 v29, v29, v30, s[4:5]
	v_cndmask_b32_e64 v2, v35, v2, s[6:7]
	v_alignbit_b32 v31, v27, v29, v33
	v_cndmask_b32_e32 v28, v32, v28, vcc
	v_cndmask_b32_e64 v27, v31, v27, s[6:7]
	v_bfe_u32 v35, v2, 29, 1
	v_cndmask_b32_e64 v24, v24, v28, s[2:3]
	v_alignbit_b32 v31, v2, v27, 30
	v_sub_u32_e32 v36, 0, v35
	v_cndmask_b32_e64 v24, v30, v24, s[4:5]
	v_xor_b32_e32 v37, v31, v36
	v_alignbit_b32 v28, v29, v24, v33
	v_cndmask_b32_e64 v28, v28, v29, s[6:7]
	v_ffbh_u32_e32 v29, v37
	v_add_u32_e32 v29, 1, v29
	v_cmp_ne_u32_e32 vcc, v31, v36
	v_alignbit_b32 v27, v27, v28, 30
	v_alignbit_b32 v24, v28, v24, 30
	v_cndmask_b32_e32 v29, 33, v29, vcc
	v_xor_b32_e32 v27, v27, v36
	v_sub_u32_e32 v30, 32, v29
	v_xor_b32_e32 v24, v24, v36
	v_alignbit_b32 v31, v37, v27, v30
	v_alignbit_b32 v24, v27, v24, v30
	;; [unrolled: 1-line block ×3, first 2 shown]
	v_ffbh_u32_e32 v28, v27
	v_min_u32_e32 v28, 32, v28
	v_lshrrev_b32_e32 v34, 29, v2
	v_sub_u32_e32 v30, 31, v28
	v_alignbit_b32 v24, v27, v24, v30
	v_lshlrev_b32_e32 v27, 31, v34
	v_or_b32_e32 v30, 0x33800000, v27
	v_add_lshl_u32 v28, v28, v29, 23
	v_lshrrev_b32_e32 v24, 9, v24
	v_sub_u32_e32 v28, v30, v28
	v_or_b32_e32 v24, v28, v24
	v_alignbit_b32 v28, v29, v31, 9
	v_or_b32_e32 v27, v28, v27
	v_xor_b32_e32 v27, 1.0, v27
	v_mul_f32_e32 v28, 0x3fc90fda, v27
	v_fma_f32 v29, v27, s26, -v28
	v_fmac_f32_e32 v29, 0x33a22168, v27
	v_fmac_f32_e32 v29, 0x3fc90fda, v24
	v_lshrrev_b32_e32 v2, 30, v2
	v_add_f32_e32 v24, v28, v29
	v_add_u32_e32 v2, v35, v2
                                        ; implicit-def: $vgpr29
	s_andn2_saveexec_b64 s[2:3], s[14:15]
	s_cbranch_execz .LBB3_1
	s_branch .LBB3_25
.LBB3_24:                               ;   in Loop: Header=BB3_2 Depth=1
	s_andn2_saveexec_b64 s[2:3], s[14:15]
	s_cbranch_execz .LBB3_1
.LBB3_25:                               ;   in Loop: Header=BB3_2 Depth=1
	v_cvt_i32_f32_e32 v2, v29
	v_fma_f32 v24, v29, s29, |v22|
	v_fmac_f32_e32 v24, 0xb3a22168, v29
	v_fmac_f32_e32 v24, 0xa7c234c4, v29
	s_branch .LBB3_1
.LBB3_26:
	scratch_load_dwordx4 v[0:3], off, off offset:348
	scratch_load_dwordx4 v[4:7], off, off offset:364
	scratch_load_dwordx3 v[8:10], off, off offset:332
	scratch_load_dwordx4 v[10:13], off, off offset:252
	scratch_load_dwordx4 v[20:23], off, off offset:268
	;; [unrolled: 1-line block ×3, first 2 shown]
	scratch_load_dwordx2 v[14:15], off, off offset:136
	scratch_load_dwordx4 v[44:47], off, off offset:172
	scratch_load_dwordx3 v[86:88], off, off offset:188
	scratch_load_dwordx4 v[24:27], off, off offset:220
	scratch_load_dwordx2 v[72:73], off, off offset:216
	scratch_load_dwordx4 v[28:31], off, off offset:236
	scratch_load_dwordx2 v[74:75], off, off offset:232
	scratch_load_dwordx2 v[76:77], off, off offset:340
	scratch_load_dwordx2 v[78:79], off, off offset:344
	scratch_load_dwordx4 v[32:35], off, off offset:156
	scratch_load_dwordx4 v[36:39], off, off offset:140
	scratch_load_dwordx2 v[80:81], off, off offset:24
	scratch_load_dwordx4 v[40:43], off, off offset:28
	scratch_load_dwordx4 v[118:121], off, off offset:76
	;; [unrolled: 1-line block ×3, first 2 shown]
	scratch_load_dwordx2 v[82:83], off, off offset:40
	scratch_load_dwordx4 v[52:55], off, off offset:44
	scratch_load_dword v15, off, off offset:380
	s_mov_b32 s25, 0
	s_movk_i32 s33, 0x46
	s_movk_i32 s40, 0x45
	s_mov_b32 s41, 0xf800000
	s_mov_b32 s26, 0x42340000
	v_mov_b32_e32 v97, 0
	v_mov_b32_e32 v101, 0x260
	;; [unrolled: 1-line block ×3, first 2 shown]
	s_mov_b32 s24, s25
	s_waitcnt vmcnt(20)
	v_mov_b32_e32 v124, v11
	v_mov_b32_e32 v125, v12
	s_waitcnt vmcnt(11)
	v_mov_b32_e32 v75, v23
	v_mov_b32_e32 v27, v22
	;; [unrolled: 1-line block ×4, first 2 shown]
	s_waitcnt vmcnt(10)
	v_mov_b32_e32 v77, v2
	s_waitcnt vmcnt(9)
	v_mov_b32_e32 v79, v3
	;; [unrolled: 2-line block ×3, first 2 shown]
	v_mov_b32_e32 v43, v120
	s_waitcnt vmcnt(0)
	scratch_store_dword off, v15, off offset:532 ; 4-byte Folded Spill
	scratch_load_dwordx4 v[56:59], off, off
	scratch_load_dwordx3 v[90:92], off, off offset:12
	scratch_load_dwordx2 v[106:107], off, off offset:104
	scratch_load_dwordx3 v[94:96], off, off offset:92
	scratch_load_dwordx2 v[114:115], off, off offset:120
	;; [unrolled: 2-line block ×3, first 2 shown]
	scratch_load_dwordx3 v[102:104], off, off offset:204
	scratch_load_dwordx4 v[60:63], off, off offset:316
	scratch_load_dwordx4 v[64:67], off, off offset:284
	;; [unrolled: 1-line block ×3, first 2 shown]
	s_load_dwordx2 s[2:3], s[0:1], 0x0
	s_load_dwordx4 s[20:23], s[0:1], 0x48
	scratch_store_dwordx2 off, v[124:125], off offset:560 ; 8-byte Folded Spill
	v_mov_b32_e32 v124, v0
	v_mov_b32_e32 v125, v4
	s_waitcnt lgkmcnt(0)
	s_max_i32 s42, s3, 1
	s_max_i32 s43, s2, 1
	s_add_u32 s28, s36, 8
	v_mov_b32_e32 v0, v9
	s_addc_u32 s29, s37, 0
	scratch_store_dwordx2 off, v[124:125], off offset:568 ; 8-byte Folded Spill
	scratch_store_dwordx3 off, v[8:10], off offset:400 ; 12-byte Folded Spill
	scratch_store_dwordx2 off, v[76:77], off offset:484 ; 8-byte Folded Spill
	scratch_store_dwordx4 off, v[0:3], off offset:384 ; 16-byte Folded Spill
	v_mov_b32_e32 v15, v47
	s_waitcnt vmcnt(9)
	v_mov_b32_e32 v123, v31
	v_mov_b32_e32 v115, v35
	;; [unrolled: 1-line block ×3, first 2 shown]
	v_mov_b64_e32 v[0:1], v[118:119]
	v_mov_b32_e32 v81, v51
	v_mov_b32_e32 v59, v55
	;; [unrolled: 1-line block ×3, first 2 shown]
	scratch_store_dwordx2 off, v[78:79], off offset:492 ; 8-byte Folded Spill
	scratch_store_dwordx2 off, v[82:83], off offset:524 ; 8-byte Folded Spill
	;; [unrolled: 1-line block ×4, first 2 shown]
	scratch_store_dwordx4 off, v[20:23], off offset:428 ; 16-byte Folded Spill
	scratch_store_dwordx4 off, v[10:13], off offset:412 ; 16-byte Folded Spill
	scratch_store_dwordx2 off, v[72:73], off offset:468 ; 8-byte Folded Spill
	scratch_store_dwordx2 off, v[122:123], off offset:552 ; 8-byte Folded Spill
	scratch_store_dwordx4 off, v[44:47], off offset:452 ; 16-byte Folded Spill
	scratch_store_dwordx2 off, v[114:115], off offset:544 ; 8-byte Folded Spill
	scratch_store_dwordx2 off, v[106:107], off offset:536 ; 8-byte Folded Spill
	scratch_store_dwordx4 off, v[0:3], off offset:508 ; 16-byte Folded Spill
	scratch_store_dwordx2 off, v[80:81], off offset:500 ; 8-byte Folded Spill
.LBB3_27:                               ; =>This Loop Header: Depth=1
                                        ;     Child Loop BB3_28 Depth 2
	s_lshl_b64 s[0:1], s[24:25], 4
	s_add_u32 s0, s38, s0
	s_addc_u32 s1, s39, s1
	global_load_dwordx4 v[72:75], v97, s[0:1]
	scratch_load_dwordx2 v[0:1], off, off offset:560 ; 8-byte Folded Reload
	scratch_load_dwordx4 v[20:23], off, off offset:508 ; 16-byte Folded Reload
	scratch_load_dwordx4 v[78:81], off, off offset:452 ; 16-byte Folded Reload
	;; [unrolled: 1-line block ×4, first 2 shown]
	s_mov_b32 s36, s42
	s_mov_b64 s[30:31], s[28:29]
	scratch_load_dword v4, off, off offset:532 ; 4-byte Folded Reload
	s_waitcnt vmcnt(4)
	v_fma_f32 v22, v72, v95, v98
	v_pk_mul_f32 v[0:1], v[72:73], v[0:1]
	s_waitcnt vmcnt(2)
	v_mov_b64_e32 v[10:11], v[20:21]
	v_fma_f32 v11, v72, v11, v94
	v_mov_b64_e32 v[12:13], v[8:9]
	v_fma_f32 v9, v72, v49, v10
	v_fma_f32 v10, v72, v41, v52
	v_add_f32_e32 v0, v12, v0
	s_waitcnt vmcnt(1)
	v_pk_fma_f32 v[82:83], v[72:73], v[42:43], v[10:11] op_sel:[1,0,0]
	scratch_load_dwordx3 v[10:12], off, off offset:400 ; 12-byte Folded Reload
	v_fma_f32 v81, v72, v13, v64
	v_fma_f32 v8, v72, v91, v40
	v_fmac_f32_e32 v8, v73, v92
	v_fmac_f32_e32 v9, v73, v50
	v_mov_b64_e32 v[14:15], v[78:79]
	v_fma_f32 v47, v72, v33, v14
	v_fma_f32 v14, v72, v17, v36
	v_fma_f32 v15, v72, v15, v86
	v_pk_fma_f32 v[106:107], v[72:73], v[18:19], v[14:15] op_sel:[1,0,0]
	v_fma_f32 v23, v72, v37, v32
	v_fmac_f32_e32 v22, v73, v96
	v_fmac_f32_e32 v23, v73, v38
	v_fma_f32 v46, v72, v99, v16
	v_fmac_f32_e32 v46, v73, v100
	v_fmac_f32_e32 v47, v73, v34
	v_fma_f32 v78, v72, v87, v102
	v_fma_f32 v79, v72, v29, v80
	v_fmac_f32_e32 v78, v73, v88
	v_fmac_f32_e32 v79, v73, v30
	v_add_f32_e32 v1, v0, v1
	v_fma_f32 v0, v72, v103, v24
	v_ashrrev_i32_e32 v77, 31, v75
	v_mov_b32_e32 v76, v75
	v_fmac_f32_e32 v0, v73, v104
	v_fma_f32 v2, v72, v56, v90
	v_fma_f32 v3, v72, v53, v48
	;; [unrolled: 1-line block ×5, first 2 shown]
	v_fmac_f32_e32 v2, v73, v57
	v_fmac_f32_e32 v3, v73, v54
	v_pk_fma_f32 v[80:81], v[72:73], v[26:27], v[80:81] op_sel:[1,0,0]
	v_fmac_f32_e32 v35, v73, v66
	v_fmac_f32_e32 v39, v73, v70
	v_pk_fma_f32 v[2:3], v[74:75], v[58:59], v[2:3] op_sel_hi:[0,1,1]
	v_fmac_f32_e32 v35, v74, v67
	v_fmac_f32_e32 v39, v74, v71
	s_waitcnt vmcnt(1)
	v_fma_f32 v55, v72, v5, v4
	v_fmac_f32_e32 v55, v73, v6
	v_fmac_f32_e32 v55, v74, v7
	s_waitcnt vmcnt(0)
	v_fma_f32 v51, v72, v61, v10
	scratch_load_dwordx4 v[10:13], off, off offset:384 ; 16-byte Folded Reload
	scratch_load_dwordx2 v[12:13], off, off offset:568 ; 8-byte Folded Reload
	v_fmac_f32_e32 v51, v73, v62
	v_fmac_f32_e32 v51, v74, v63
	s_waitcnt vmcnt(0)
	v_pk_fma_f32 v[10:11], v[72:73], v[10:11], v[12:13] op_sel_hi:[0,1,1]
	scratch_load_dwordx2 v[12:13], off, off offset:484 ; 8-byte Folded Reload
	s_waitcnt vmcnt(0)
	v_pk_fma_f32 v[114:115], v[72:73], v[12:13], v[10:11] op_sel:[1,0,0]
	scratch_load_dwordx2 v[10:11], off, off offset:500 ; 8-byte Folded Reload
	scratch_load_dwordx2 v[12:13], off, off offset:492 ; 8-byte Folded Reload
	s_waitcnt vmcnt(1)
	v_pk_fma_f32 v[10:11], v[74:75], v[10:11], v[8:9] op_sel_hi:[0,1,1]
	scratch_load_dwordx2 v[8:9], off, off offset:524 ; 8-byte Folded Reload
	s_waitcnt vmcnt(1)
	v_pk_fma_f32 v[124:125], v[74:75], v[12:13], v[114:115] op_sel_hi:[0,1,1]
	;; [unrolled: 3-line block ×4, first 2 shown]
	v_lshlrev_b64 v[0:1], 4, v[76:77]
	v_lshl_add_u64 v[0:1], s[22:23], 0, v[0:1]
	s_waitcnt vmcnt(0)
	v_pk_fma_f32 v[22:23], v[74:75], v[8:9], v[22:23] op_sel_hi:[0,1,1]
	scratch_load_dwordx2 v[8:9], off, off offset:544 ; 8-byte Folded Reload
	s_waitcnt vmcnt(0)
	v_pk_fma_f32 v[46:47], v[74:75], v[8:9], v[46:47] op_sel_hi:[0,1,1]
	scratch_load_dwordx2 v[8:9], off, off offset:444 ; 8-byte Folded Reload
	s_waitcnt vmcnt(0)
	v_pk_fma_f32 v[120:121], v[74:75], v[8:9], v[106:107] op_sel_hi:[0,1,1]
	scratch_load_dwordx2 v[8:9], off, off offset:552 ; 8-byte Folded Reload
	s_waitcnt vmcnt(0)
	v_pk_fma_f32 v[122:123], v[74:75], v[8:9], v[78:79] op_sel_hi:[0,1,1]
	scratch_load_dwordx2 v[8:9], off, off offset:476 ; 8-byte Folded Reload
	s_waitcnt vmcnt(0)
	v_pk_fma_f32 v[8:9], v[74:75], v[8:9], v[80:81] op_sel_hi:[0,1,1]
	global_load_dwordx4 v[72:75], v[0:1], off
	v_mov_b32_e32 v0, 0x40b00000
	s_waitcnt vmcnt(0)
	v_cmp_gt_f32_e64 s[8:9], 0, v74
	s_nop 1
	v_cndmask_b32_e64 v105, 1.0, v0, s[8:9]
	v_mov_b32_e32 v0, 0xff7fffff
	v_cmp_lt_f32_e64 s[2:3], 0, v74
	v_cmp_eq_u32_e64 s[4:5], s33, v72
	v_cmp_eq_u32_e64 s[6:7], s40, v72
	v_cndmask_b32_e64 v115, v0, 1.0, s[8:9]
	v_mov_b32_e32 v106, v75
.LBB3_28:                               ;   Parent Loop BB3_27 Depth=1
                                        ; =>  This Inner Loop Header: Depth=2
	global_load_dwordx4 v[76:79], v97, s[30:31] offset:-8
	s_waitcnt vmcnt(0)
	v_ashrrev_i32_e32 v1, 31, v79
	v_mov_b32_e32 v0, v79
	v_lshlrev_b64 v[0:1], 4, v[0:1]
	v_lshl_add_u64 v[0:1], s[22:23], 0, v[0:1]
	global_load_dwordx4 v[80:83], v[0:1], off
	v_pk_add_f32 v[44:45], v[10:11], v[76:77] op_sel:[0,1] neg_lo:[0,1] neg_hi:[0,1]
	s_waitcnt vmcnt(0)
	v_add_f32_e32 v116, v73, v81
	v_div_scale_f32 v0, s[0:1], v116, v116, 1.0
	v_rcp_f32_e32 v1, v0
	v_cmp_lt_f32_e64 s[0:1], 0, v82
	s_and_b64 s[0:1], s[0:1], s[8:9]
	v_cmp_neq_f32_e64 s[10:11], 0, v82
	v_fma_f32 v4, -v0, v1, 1.0
	v_fmac_f32_e32 v1, v4, v1
	v_div_scale_f32 v4, vcc, 1.0, v116, 1.0
	v_mul_f32_e32 v12, v4, v1
	v_fma_f32 v13, -v0, v12, v4
	v_fmac_f32_e32 v12, v13, v1
	v_fma_f32 v0, -v0, v12, v4
	v_div_fmas_f32 v0, v0, v1, v12
	v_cmp_eq_u32_e32 vcc, s33, v80
	s_and_b64 vcc, vcc, s[4:5]
	v_cndmask_b32_e64 v1, v74, -v74, s[0:1]
	v_cndmask_b32_e64 v93, 2.0, 4.0, vcc
	v_cndmask_b32_e32 v84, 0.5, v117, vcc
	v_cmp_eq_u32_e32 vcc, s40, v80
	s_or_b64 s[34:35], vcc, s[6:7]
	v_cmp_gt_f32_e32 vcc, 0, v82
	s_and_b64 s[14:15], vcc, s[2:3]
	v_div_fixup_f32 v114, v0, v116, 1.0
	v_cndmask_b32_e32 v75, v115, v105, vcc
	v_div_scale_f32 v4, s[0:1], v75, v75, 1.0
	v_rcp_f32_e32 v12, v4
	v_cndmask_b32_e64 v0, v82, -v82, s[14:15]
	v_pk_mul_f32 v[44:45], v[44:45], v[44:45]
	v_mov_b32_e32 v80, v83
	v_fma_f32 v13, -v4, v12, 1.0
	v_fmac_f32_e32 v12, v13, v12
	v_div_scale_f32 v13, vcc, 1.0, v75, 1.0
	v_mul_f32_e32 v20, v13, v12
	v_fma_f32 v21, -v4, v20, v13
	v_fmac_f32_e32 v20, v21, v12
	v_fma_f32 v4, -v4, v20, v13
	v_div_fmas_f32 v4, v4, v12, v20
	v_sub_f32_e32 v13, v39, v77
	v_div_fixup_f32 v72, v4, v75, 1.0
	v_add_f32_e32 v4, v0, v1
	v_sub_f32_e32 v1, v35, v76
	v_mul_f32_e32 v13, v13, v13
	v_sub_f32_e32 v0, v51, v78
	v_fmac_f32_e32 v13, v1, v1
	v_fmac_f32_e32 v13, v0, v0
	v_cmp_gt_f32_e32 vcc, s41, v13
	v_mul_f32_e32 v0, 0x4f800000, v13
	v_sub_f32_e32 v12, v55, v78
	v_cndmask_b32_e32 v0, v13, v0, vcc
	v_sqrt_f32_e32 v1, v0
	s_nop 0
	v_add_u32_e32 v13, -1, v1
	v_fma_f32 v20, -v13, v1, v0
	v_cmp_ge_f32_e64 s[0:1], 0, v20
	v_add_u32_e32 v20, 1, v1
	s_nop 0
	v_cndmask_b32_e64 v13, v1, v13, s[0:1]
	v_fma_f32 v1, -v20, v1, v0
	v_cmp_lt_f32_e64 s[0:1], 0, v1
	s_nop 1
	v_cndmask_b32_e64 v1, v13, v20, s[0:1]
	v_mul_f32_e32 v13, 0x37800000, v1
	v_cndmask_b32_e32 v1, v1, v13, vcc
	v_cmp_class_f32_e32 vcc, v0, v101
	v_pk_add_f32 v[20:21], v[2:3], v[76:77] op_sel_hi:[1,0] neg_lo:[0,1] neg_hi:[0,1]
	s_nop 0
	v_cndmask_b32_e32 v0, v1, v0, vcc
	v_sub_f32_e32 v1, v0, v116
	v_cmp_gt_f32_e32 vcc, 0, v1
	v_fma_f32 v0, -v114, v0, 1.0
	v_cmp_lt_f32_e64 s[0:1], v1, v93
	v_cndmask_b32_e32 v13, 0, v31, vcc
	v_fmac_f32_e32 v89, v0, v13
	v_fma_f32 v0, -v84, v1, 1.0
	v_cndmask_b32_e64 v13, 0, 1.0, s[0:1]
	v_cmp_lt_f32_e64 s[0:1], v1, v75
	v_cndmask_b32_e64 v0, v0, 1.0, vcc
	s_and_b64 s[0:1], s[10:11], s[0:1]
	v_mul_f32_e32 v82, v13, v0
	v_fma_f32 v0, -v72, v1, 1.0
	v_cndmask_b32_e64 v1, 0, 1.0, s[0:1]
	v_mul_f32_e32 v118, v4, v1
	v_cndmask_b32_e64 v119, v0, 1.0, vcc
	v_pk_add_f32 v[0:1], v[124:125], v[76:77] neg_lo:[0,1] neg_hi:[0,1]
	v_pk_fma_f32 v[20:21], v[20:21], v[20:21], v[44:45]
	v_pk_mul_f32 v[0:1], v[0:1], v[0:1]
	s_nop 0
	v_add_f32_e32 v0, v0, v1
	v_fmac_f32_e32 v0, v12, v12
	v_cmp_gt_f32_e32 vcc, s41, v0
	v_mul_f32_e32 v1, 0x4f800000, v0
	s_nop 0
	v_cndmask_b32_e32 v0, v0, v1, vcc
	v_sqrt_f32_e32 v1, v0
	s_nop 0
	v_add_u32_e32 v12, -1, v1
	v_fma_f32 v13, -v12, v1, v0
	v_cmp_ge_f32_e64 s[0:1], 0, v13
	v_add_u32_e32 v13, 1, v1
	s_nop 0
	v_cndmask_b32_e64 v12, v1, v12, s[0:1]
	v_fma_f32 v1, -v13, v1, v0
	v_cmp_lt_f32_e64 s[0:1], 0, v1
	s_nop 1
	v_cndmask_b32_e64 v1, v12, v13, s[0:1]
	v_mul_f32_e32 v12, 0x37800000, v1
	v_cndmask_b32_e32 v1, v1, v12, vcc
	v_cmp_class_f32_e32 vcc, v0, v101
	s_nop 1
	v_cndmask_b32_e32 v1, v1, v0, vcc
	v_sub_f32_e32 v0, v1, v116
	v_cmp_gt_f32_e32 vcc, 0, v0
	v_fma_f32 v1, -v114, v1, 1.0
	v_cmp_lt_f32_e64 s[0:1], v0, v93
	v_cndmask_b32_e32 v12, 0, v31, vcc
	v_fmac_f32_e32 v85, v1, v12
	v_pk_add_f32 v[12:13], v[14:15], v[78:79] op_sel_hi:[1,0] neg_lo:[0,1] neg_hi:[0,1]
	v_fma_f32 v1, -v84, v0, 1.0
	v_pk_fma_f32 v[12:13], v[12:13], v[12:13], v[20:21]
	v_cndmask_b32_e64 v81, v1, 1.0, vcc
	v_cndmask_b32_e64 v107, 0, 1.0, s[0:1]
	v_cmp_gt_f32_e64 s[0:1], s41, v13
	v_mul_f32_e32 v1, 0x4f800000, v13
	v_pk_mul_f32 v[80:81], v[106:107], v[80:81]
	v_cndmask_b32_e64 v1, v13, v1, s[0:1]
	v_sqrt_f32_e32 v13, v1
	s_nop 0
	v_add_u32_e32 v20, -1, v13
	v_fma_f32 v21, -v20, v13, v1
	v_cmp_ge_f32_e64 s[14:15], 0, v21
	v_add_u32_e32 v21, 1, v13
	s_nop 0
	v_cndmask_b32_e64 v20, v13, v20, s[14:15]
	v_fma_f32 v13, -v21, v13, v1
	v_cmp_lt_f32_e64 s[14:15], 0, v13
	s_nop 1
	v_cndmask_b32_e64 v13, v20, v21, s[14:15]
	v_mul_f32_e32 v20, 0x37800000, v13
	v_cndmask_b32_e64 v13, v13, v20, s[0:1]
	v_cmp_class_f32_e64 s[0:1], v1, v101
	s_nop 1
	v_cndmask_b32_e64 v13, v13, v1, s[0:1]
	v_cmp_gt_f32_e64 s[0:1], s41, v12
	v_mul_f32_e32 v1, 0x4f800000, v12
	s_nop 0
	v_cndmask_b32_e64 v1, v12, v1, s[0:1]
	v_sqrt_f32_e32 v12, v1
	s_nop 0
	v_add_u32_e32 v20, -1, v12
	v_fma_f32 v21, -v20, v12, v1
	v_cmp_ge_f32_e64 s[14:15], 0, v21
	v_add_u32_e32 v21, 1, v12
	s_nop 0
	v_cndmask_b32_e64 v20, v12, v20, s[14:15]
	v_fma_f32 v12, -v21, v12, v1
	v_cmp_lt_f32_e64 s[14:15], 0, v12
	s_nop 1
	v_cndmask_b32_e64 v12, v20, v21, s[14:15]
	v_mul_f32_e32 v20, 0x37800000, v12
	v_cndmask_b32_e64 v12, v12, v20, s[0:1]
	v_cmp_class_f32_e64 s[0:1], v1, v101
	s_nop 1
	v_cndmask_b32_e64 v12, v12, v1, s[0:1]
	v_pk_add_f32 v[20:21], v[12:13], v[116:117] op_sel_hi:[1,0] neg_lo:[0,1] neg_hi:[0,1]
	v_pk_fma_f32 v[12:13], v[114:115], v[12:13], 1.0 op_sel_hi:[0,1,0] neg_lo:[1,0,0] neg_hi:[1,0,0]
	v_cmp_gt_f32_e64 s[0:1], 0, v20
	v_cmp_gt_f32_e64 s[14:15], 0, v21
	v_cmp_lt_f32_e64 s[16:17], v20, v93
	v_cndmask_b32_e64 v44, 0, v31, s[0:1]
	v_cndmask_b32_e64 v45, 0, v31, s[14:15]
	v_pk_fma_f32 v[12:13], v[12:13], v[44:45], v[110:111]
	v_pk_fma_f32 v[44:45], v[84:85], v[20:21], 1.0 op_sel_hi:[0,1,0] neg_lo:[1,0,0] neg_hi:[1,0,0]
	v_cmp_lt_f32_e64 s[18:19], v21, v93
	v_cndmask_b32_e64 v45, v45, 1.0, s[14:15]
	v_cndmask_b32_e64 v44, v44, 1.0, s[0:1]
	;; [unrolled: 1-line block ×4, first 2 shown]
	v_pk_mul_f32 v[44:45], v[110:111], v[44:45]
	v_cmp_lt_f32_e64 s[16:17], v21, v75
	v_cmp_lt_f32_e64 s[18:19], v20, v75
	s_and_b64 s[18:19], s[10:11], s[18:19]
	s_and_b64 s[16:17], s[10:11], s[16:17]
	v_pk_mul_f32 v[44:45], v[80:81], v[44:45] op_sel_hi:[0,1]
	v_pk_fma_f32 v[110:111], v[72:73], v[20:21], 1.0 op_sel_hi:[0,1,0] neg_lo:[1,0,0] neg_hi:[1,0,0]
	v_cndmask_b32_e64 v21, 0, 1.0, s[16:17]
	v_cndmask_b32_e64 v20, 0, 1.0, s[18:19]
	v_cndmask_b32_e64 v45, v45, -|v45|, s[34:35]
	v_cndmask_b32_e64 v44, v44, -|v44|, s[34:35]
	v_pk_mul_f32 v[20:21], v[4:5], v[20:21] op_sel_hi:[0,1]
	v_cndmask_b32_e64 v111, v111, 1.0, s[14:15]
	v_cndmask_b32_e64 v110, v110, 1.0, s[0:1]
	v_pk_fma_f32 v[12:13], v[44:45], s[26:27], v[12:13] op_sel_hi:[1,0,1]
	v_pk_add_f32 v[44:45], v[46:47], v[76:77] op_sel:[0,1] neg_lo:[0,1] neg_hi:[0,1]
	v_pk_fma_f32 v[110:111], v[110:111], v[20:21], v[12:13]
	v_pk_add_f32 v[20:21], v[22:23], v[76:77] op_sel_hi:[1,0] neg_lo:[0,1] neg_hi:[0,1]
	v_pk_mul_f32 v[44:45], v[44:45], v[44:45]
	v_pk_add_f32 v[12:13], v[120:121], v[78:79] op_sel_hi:[1,0] neg_lo:[0,1] neg_hi:[0,1]
	v_pk_fma_f32 v[20:21], v[20:21], v[20:21], v[44:45]
	s_nop 0
	v_pk_fma_f32 v[12:13], v[12:13], v[12:13], v[20:21]
	s_nop 0
	v_cmp_gt_f32_e64 s[0:1], s41, v13
	v_mul_f32_e32 v1, 0x4f800000, v13
	s_nop 0
	v_cndmask_b32_e64 v1, v13, v1, s[0:1]
	v_sqrt_f32_e32 v13, v1
	s_nop 0
	v_add_u32_e32 v20, -1, v13
	v_fma_f32 v21, -v20, v13, v1
	v_cmp_ge_f32_e64 s[14:15], 0, v21
	v_add_u32_e32 v21, 1, v13
	s_nop 0
	v_cndmask_b32_e64 v20, v13, v20, s[14:15]
	v_fma_f32 v13, -v21, v13, v1
	v_cmp_lt_f32_e64 s[14:15], 0, v13
	s_nop 1
	v_cndmask_b32_e64 v13, v20, v21, s[14:15]
	v_mul_f32_e32 v20, 0x37800000, v13
	v_cndmask_b32_e64 v13, v13, v20, s[0:1]
	v_cmp_class_f32_e64 s[0:1], v1, v101
	s_nop 1
	v_cndmask_b32_e64 v13, v13, v1, s[0:1]
	v_cmp_gt_f32_e64 s[0:1], s41, v12
	v_mul_f32_e32 v1, 0x4f800000, v12
	s_nop 0
	v_cndmask_b32_e64 v1, v12, v1, s[0:1]
	v_sqrt_f32_e32 v12, v1
	s_nop 0
	v_add_u32_e32 v20, -1, v12
	v_fma_f32 v21, -v20, v12, v1
	v_cmp_ge_f32_e64 s[14:15], 0, v21
	v_add_u32_e32 v21, 1, v12
	s_nop 0
	v_cndmask_b32_e64 v20, v12, v20, s[14:15]
	v_fma_f32 v12, -v21, v12, v1
	v_cmp_lt_f32_e64 s[14:15], 0, v12
	s_nop 1
	v_cndmask_b32_e64 v12, v20, v21, s[14:15]
	v_mul_f32_e32 v20, 0x37800000, v12
	v_cndmask_b32_e64 v12, v12, v20, s[0:1]
	v_cmp_class_f32_e64 s[0:1], v1, v101
	s_nop 1
	v_cndmask_b32_e64 v12, v12, v1, s[0:1]
	v_pk_add_f32 v[20:21], v[12:13], v[116:117] op_sel_hi:[1,0] neg_lo:[0,1] neg_hi:[0,1]
	v_pk_fma_f32 v[12:13], v[114:115], v[12:13], 1.0 op_sel_hi:[0,1,0] neg_lo:[1,0,0] neg_hi:[1,0,0]
	v_cmp_gt_f32_e64 s[0:1], 0, v20
	v_cmp_gt_f32_e64 s[14:15], 0, v21
	v_cmp_lt_f32_e64 s[16:17], v20, v93
	v_cndmask_b32_e64 v44, 0, v31, s[0:1]
	v_cndmask_b32_e64 v45, 0, v31, s[14:15]
	v_pk_fma_f32 v[12:13], v[12:13], v[44:45], v[108:109]
	v_pk_fma_f32 v[44:45], v[84:85], v[20:21], 1.0 op_sel_hi:[0,1,0] neg_lo:[1,0,0] neg_hi:[1,0,0]
	v_cmp_lt_f32_e64 s[18:19], v21, v93
	v_cndmask_b32_e64 v45, v45, 1.0, s[14:15]
	v_cndmask_b32_e64 v44, v44, 1.0, s[0:1]
	;; [unrolled: 1-line block ×4, first 2 shown]
	v_pk_mul_f32 v[44:45], v[108:109], v[44:45]
	v_cmp_lt_f32_e64 s[16:17], v21, v75
	v_cmp_lt_f32_e64 s[18:19], v20, v75
	s_and_b64 s[18:19], s[10:11], s[18:19]
	s_and_b64 s[16:17], s[10:11], s[16:17]
	v_pk_mul_f32 v[44:45], v[80:81], v[44:45] op_sel_hi:[0,1]
	v_pk_fma_f32 v[108:109], v[72:73], v[20:21], 1.0 op_sel_hi:[0,1,0] neg_lo:[1,0,0] neg_hi:[1,0,0]
	v_cndmask_b32_e64 v21, 0, 1.0, s[16:17]
	v_cndmask_b32_e64 v20, 0, 1.0, s[18:19]
	v_cndmask_b32_e64 v45, v45, -|v45|, s[34:35]
	v_cndmask_b32_e64 v44, v44, -|v44|, s[34:35]
	v_pk_mul_f32 v[20:21], v[4:5], v[20:21] op_sel_hi:[0,1]
	v_cndmask_b32_e64 v109, v109, 1.0, s[14:15]
	v_cndmask_b32_e64 v108, v108, 1.0, s[0:1]
	v_pk_fma_f32 v[12:13], v[44:45], s[26:27], v[12:13] op_sel_hi:[1,0,1]
	v_pk_add_f32 v[44:45], v[126:127], v[76:77] op_sel:[0,1] neg_lo:[0,1] neg_hi:[0,1]
	v_pk_fma_f32 v[108:109], v[108:109], v[20:21], v[12:13]
	v_pk_add_f32 v[20:21], v[122:123], v[76:77] op_sel_hi:[1,0] neg_lo:[0,1] neg_hi:[0,1]
	v_pk_mul_f32 v[44:45], v[44:45], v[44:45]
	v_pk_add_f32 v[12:13], v[8:9], v[78:79] op_sel_hi:[1,0] neg_lo:[0,1] neg_hi:[0,1]
	v_pk_fma_f32 v[20:21], v[20:21], v[20:21], v[44:45]
	s_nop 0
	v_pk_fma_f32 v[12:13], v[12:13], v[12:13], v[20:21]
	s_nop 0
	v_cmp_gt_f32_e64 s[0:1], s41, v13
	v_mul_f32_e32 v1, 0x4f800000, v13
	s_nop 0
	v_cndmask_b32_e64 v1, v13, v1, s[0:1]
	v_sqrt_f32_e32 v13, v1
	s_nop 0
	v_add_u32_e32 v20, -1, v13
	v_fma_f32 v21, -v20, v13, v1
	v_cmp_ge_f32_e64 s[14:15], 0, v21
	v_add_u32_e32 v21, 1, v13
	s_nop 0
	v_cndmask_b32_e64 v20, v13, v20, s[14:15]
	v_fma_f32 v13, -v21, v13, v1
	v_cmp_lt_f32_e64 s[14:15], 0, v13
	s_nop 1
	v_cndmask_b32_e64 v13, v20, v21, s[14:15]
	v_mul_f32_e32 v20, 0x37800000, v13
	v_cndmask_b32_e64 v13, v13, v20, s[0:1]
	v_cmp_class_f32_e64 s[0:1], v1, v101
	s_nop 1
	v_cndmask_b32_e64 v77, v13, v1, s[0:1]
	v_cmp_gt_f32_e64 s[0:1], s41, v12
	v_mul_f32_e32 v1, 0x4f800000, v12
	s_nop 0
	v_cndmask_b32_e64 v1, v12, v1, s[0:1]
	v_sqrt_f32_e32 v12, v1
	s_nop 0
	v_add_u32_e32 v13, -1, v12
	v_fma_f32 v20, -v13, v12, v1
	v_cmp_ge_f32_e64 s[14:15], 0, v20
	v_add_u32_e32 v20, 1, v12
	s_nop 0
	v_cndmask_b32_e64 v13, v12, v13, s[14:15]
	v_fma_f32 v12, -v20, v12, v1
	v_cmp_lt_f32_e64 s[14:15], 0, v12
	s_nop 1
	v_cndmask_b32_e64 v12, v13, v20, s[14:15]
	v_mul_f32_e32 v13, 0x37800000, v12
	v_cndmask_b32_e64 v12, v12, v13, s[0:1]
	v_cmp_class_f32_e64 s[0:1], v1, v101
	s_nop 1
	v_cndmask_b32_e64 v76, v12, v1, s[0:1]
	v_pk_add_f32 v[78:79], v[76:77], v[116:117] op_sel_hi:[1,0] neg_lo:[0,1] neg_hi:[0,1]
	v_pk_fma_f32 v[12:13], v[114:115], v[76:77], 1.0 op_sel_hi:[0,1,0] neg_lo:[1,0,0] neg_hi:[1,0,0]
	v_cmp_gt_f32_e64 s[0:1], 0, v78
	v_cmp_gt_f32_e64 s[14:15], 0, v79
	v_cmp_lt_f32_e64 s[16:17], v78, v93
	v_cndmask_b32_e64 v20, 0, v31, s[0:1]
	v_cndmask_b32_e64 v21, 0, v31, s[14:15]
	v_pk_fma_f32 v[12:13], v[12:13], v[20:21], v[112:113]
	v_pk_fma_f32 v[20:21], v[84:85], v[78:79], 1.0 op_sel_hi:[0,1,0] neg_lo:[1,0,0] neg_hi:[1,0,0]
	v_cmp_lt_f32_e64 s[18:19], v79, v93
	v_cndmask_b32_e64 v21, v21, 1.0, s[14:15]
	v_cndmask_b32_e64 v20, v20, 1.0, s[0:1]
	;; [unrolled: 1-line block ×4, first 2 shown]
	v_mul_f32_e32 v1, v80, v82
	v_pk_mul_f32 v[20:21], v[44:45], v[20:21]
	v_pk_fma_f32 v[44:45], v[72:73], v[78:79], 1.0 op_sel_hi:[0,1,0] neg_lo:[1,0,0] neg_hi:[1,0,0]
	v_cndmask_b32_e64 v1, v1, -|v1|, s[34:35]
	v_cmp_lt_f32_e64 s[16:17], v79, v75
	v_cmp_lt_f32_e64 s[18:19], v78, v75
	v_cndmask_b32_e64 v44, v44, 1.0, s[0:1]
	v_fmac_f32_e32 v89, 0x42340000, v1
	v_mul_f32_e32 v1, v80, v81
	v_cmp_lt_f32_e64 s[0:1], v0, v75
	s_and_b64 s[18:19], s[10:11], s[18:19]
	s_and_b64 s[16:17], s[10:11], s[16:17]
	v_pk_mul_f32 v[20:21], v[80:81], v[20:21] op_sel_hi:[0,1]
	v_cndmask_b32_e64 v1, v1, -|v1|, s[34:35]
	s_and_b64 s[0:1], s[10:11], s[0:1]
	v_cndmask_b32_e64 v77, 0, 1.0, s[16:17]
	v_cndmask_b32_e64 v76, 0, 1.0, s[18:19]
	v_cndmask_b32_e64 v21, v21, -|v21|, s[34:35]
	v_cndmask_b32_e64 v20, v20, -|v20|, s[34:35]
	v_fmac_f32_e32 v85, 0x42340000, v1
	v_fma_f32 v1, -v72, v0, 1.0
	v_cndmask_b32_e64 v0, 0, 1.0, s[0:1]
	s_add_u32 s30, s30, 16
	v_pk_mul_f32 v[76:77], v[4:5], v[76:77] op_sel_hi:[0,1]
	v_cndmask_b32_e64 v45, v45, 1.0, s[14:15]
	v_pk_fma_f32 v[12:13], v[20:21], s[26:27], v[12:13] op_sel_hi:[1,0,1]
	v_mul_f32_e32 v0, v4, v0
	v_cndmask_b32_e64 v1, v1, 1.0, vcc
	s_addc_u32 s31, s31, 0
	s_add_i32 s36, s36, -1
	v_pk_fma_f32 v[112:113], v[44:45], v[76:77], v[12:13]
	v_fmac_f32_e32 v89, v119, v118
	v_fmac_f32_e32 v85, v1, v0
	s_cmp_lg_u32 s36, 0
	s_cbranch_scc1 .LBB3_28
; %bb.29:                               ;   in Loop: Header=BB3_27 Depth=1
	s_add_i32 s24, s24, 1
	s_cmp_lg_u32 s24, s43
	s_cbranch_scc1 .LBB3_27
; %bb.30:
	s_and_saveexec_b64 s[0:1], s[12:13]
	s_cbranch_execz .LBB3_32
; %bb.31:
	scratch_load_dwordx2 v[0:1], off, off offset:576 ; 8-byte Folded Reload
	v_mov_b32_e32 v5, 0
	v_mul_f32_e32 v2, 0.5, v110
	s_waitcnt vmcnt(0)
	v_mov_b32_e32 v4, v0
	v_lshl_add_u64 v[0:1], v[4:5], 2, s[20:21]
	v_add_u32_e32 v4, s27, v4
	global_store_dword v[0:1], v2, off
	v_mul_f32_e32 v2, 0.5, v111
	v_lshl_add_u64 v[0:1], v[4:5], 2, s[20:21]
	v_add_u32_e32 v4, s27, v4
	global_store_dword v[0:1], v2, off
	v_mul_f32_e32 v2, 0.5, v108
	;; [unrolled: 4-line block ×7, first 2 shown]
	v_lshl_add_u64 v[0:1], v[4:5], 2, s[20:21]
	global_store_dword v[0:1], v2, off
.LBB3_32:
	s_endpgm
	.section	.rodata,"a",@progbits
	.p2align	6, 0x0
	.amdhsa_kernel _ZL11fasten_mainILm8EEviiPK4AtomS2_PKfS4_S4_S4_S4_S4_PfPK8FFParamsi
		.amdhsa_group_segment_fixed_size 0
		.amdhsa_private_segment_fixed_size 592
		.amdhsa_kernarg_size 352
		.amdhsa_user_sgpr_count 2
		.amdhsa_user_sgpr_dispatch_ptr 0
		.amdhsa_user_sgpr_queue_ptr 0
		.amdhsa_user_sgpr_kernarg_segment_ptr 1
		.amdhsa_user_sgpr_dispatch_id 0
		.amdhsa_user_sgpr_kernarg_preload_length 0
		.amdhsa_user_sgpr_kernarg_preload_offset 0
		.amdhsa_user_sgpr_private_segment_size 0
		.amdhsa_uses_dynamic_stack 0
		.amdhsa_enable_private_segment 1
		.amdhsa_system_sgpr_workgroup_id_x 1
		.amdhsa_system_sgpr_workgroup_id_y 0
		.amdhsa_system_sgpr_workgroup_id_z 0
		.amdhsa_system_sgpr_workgroup_info 0
		.amdhsa_system_vgpr_workitem_id 0
		.amdhsa_next_free_vgpr 128
		.amdhsa_next_free_sgpr 52
		.amdhsa_accum_offset 128
		.amdhsa_reserve_vcc 1
		.amdhsa_float_round_mode_32 0
		.amdhsa_float_round_mode_16_64 0
		.amdhsa_float_denorm_mode_32 3
		.amdhsa_float_denorm_mode_16_64 3
		.amdhsa_dx10_clamp 1
		.amdhsa_ieee_mode 1
		.amdhsa_fp16_overflow 0
		.amdhsa_tg_split 0
		.amdhsa_exception_fp_ieee_invalid_op 0
		.amdhsa_exception_fp_denorm_src 0
		.amdhsa_exception_fp_ieee_div_zero 0
		.amdhsa_exception_fp_ieee_overflow 0
		.amdhsa_exception_fp_ieee_underflow 0
		.amdhsa_exception_fp_ieee_inexact 0
		.amdhsa_exception_int_div_zero 0
	.end_amdhsa_kernel
	.section	.text._ZL11fasten_mainILm8EEviiPK4AtomS2_PKfS4_S4_S4_S4_S4_PfPK8FFParamsi,"axG",@progbits,_ZL11fasten_mainILm8EEviiPK4AtomS2_PKfS4_S4_S4_S4_S4_PfPK8FFParamsi,comdat
.Lfunc_end3:
	.size	_ZL11fasten_mainILm8EEviiPK4AtomS2_PKfS4_S4_S4_S4_S4_PfPK8FFParamsi, .Lfunc_end3-_ZL11fasten_mainILm8EEviiPK4AtomS2_PKfS4_S4_S4_S4_S4_PfPK8FFParamsi
                                        ; -- End function
	.section	.AMDGPU.csdata,"",@progbits
; Kernel info:
; codeLenInByte = 8952
; NumSgprs: 58
; NumVgprs: 128
; NumAgprs: 0
; TotalNumVgprs: 128
; ScratchSize: 592
; MemoryBound: 0
; FloatMode: 240
; IeeeMode: 1
; LDSByteSize: 0 bytes/workgroup (compile time only)
; SGPRBlocks: 7
; VGPRBlocks: 15
; NumSGPRsForWavesPerEU: 58
; NumVGPRsForWavesPerEU: 128
; AccumOffset: 128
; Occupancy: 4
; WaveLimiterHint : 1
; COMPUTE_PGM_RSRC2:SCRATCH_EN: 1
; COMPUTE_PGM_RSRC2:USER_SGPR: 2
; COMPUTE_PGM_RSRC2:TRAP_HANDLER: 0
; COMPUTE_PGM_RSRC2:TGID_X_EN: 1
; COMPUTE_PGM_RSRC2:TGID_Y_EN: 0
; COMPUTE_PGM_RSRC2:TGID_Z_EN: 0
; COMPUTE_PGM_RSRC2:TIDIG_COMP_CNT: 0
; COMPUTE_PGM_RSRC3_GFX90A:ACCUM_OFFSET: 31
; COMPUTE_PGM_RSRC3_GFX90A:TG_SPLIT: 0
	.section	.text._ZL11fasten_mainILm16EEviiPK4AtomS2_PKfS4_S4_S4_S4_S4_PfPK8FFParamsi,"axG",@progbits,_ZL11fasten_mainILm16EEviiPK4AtomS2_PKfS4_S4_S4_S4_S4_PfPK8FFParamsi,comdat
	.globl	_ZL11fasten_mainILm16EEviiPK4AtomS2_PKfS4_S4_S4_S4_S4_PfPK8FFParamsi ; -- Begin function _ZL11fasten_mainILm16EEviiPK4AtomS2_PKfS4_S4_S4_S4_S4_PfPK8FFParamsi
	.p2align	8
	.type	_ZL11fasten_mainILm16EEviiPK4AtomS2_PKfS4_S4_S4_S4_S4_PfPK8FFParamsi,@function
_ZL11fasten_mainILm16EEviiPK4AtomS2_PKfS4_S4_S4_S4_S4_PfPK8FFParamsi: ; @_ZL11fasten_mainILm16EEviiPK4AtomS2_PKfS4_S4_S4_S4_S4_PfPK8FFParamsi
; %bb.0:
	s_load_dword s3, s[0:1], 0x6c
	s_load_dword s4, s[0:1], 0x58
	s_load_dwordx16 s[36:51], s[0:1], 0x8
	s_mov_b32 s9, 0
	s_mov_b64 s[10:11], 0
	s_waitcnt lgkmcnt(0)
	s_and_b32 s29, s3, 0xffff
	s_mul_i32 s2, s2, s29
	v_lshl_add_u32 v4, s2, 4, v0
	s_add_i32 s2, s4, -16
	v_mov_b32_e32 v0, s2
	v_cmp_gt_i32_e64 s[12:13], s4, v4
	v_mov_b32_e32 v2, v4
	s_lshl_b32 s8, s29, 2
	v_cndmask_b32_e64 v0, v0, v4, s[12:13]
	v_ashrrev_i32_e32 v1, 31, v0
	v_lshlrev_b64 v[16:17], 2, v[0:1]
	s_brev_b32 s18, 18
	s_mov_b32 s19, 0xfe5163ab
	s_mov_b32 s20, 0x3c439041
	;; [unrolled: 1-line block ×10, first 2 shown]
	v_mov_b32_e32 v22, 0x3c0881c4
                                        ; implicit-def: $vgpr0
	v_mov_b32_e32 v23, 0xbab64f3b
                                        ; implicit-def: $vgpr0
                                        ; implicit-def: $vgpr0
	s_movk_i32 s30, 0x1f8
	v_mov_b32_e32 v24, 0
	v_mov_b32_e32 v19, 0
	v_not_b32_e32 v25, 63
	v_not_b32_e32 v26, 31
	v_mov_b32_e32 v27, 0x7fc00000
	s_mov_b32 s31, s9
	scratch_store_dwordx2 off, v[2:3], off offset:1688 ; 8-byte Folded Spill
                                        ; implicit-def: $vgpr0
	s_branch .LBB4_2
.LBB4_1:                                ;   in Loop: Header=BB4_2 Depth=1
	s_or_b64 exec, exec, s[2:3]
	v_mul_f32_e32 v43, v42, v42
	v_fmamk_f32 v44, v43, 0xb94c1982, v22
	v_fmaak_f32 v44, v43, v44, 0xbe2aaa9d
	v_mul_f32_e32 v44, v43, v44
	v_fmac_f32_e32 v42, v42, v44
	v_fmamk_f32 v44, v43, 0x37d75334, v23
	v_fmaak_f32 v44, v43, v44, 0x3d2aabf7
	v_fmaak_f32 v44, v43, v44, 0xbf000004
	v_fma_f32 v43, v43, v44, 1.0
	v_and_b32_e32 v44, 1, v41
	v_lshlrev_b32_e32 v41, 30, v41
	v_cmp_eq_u32_e32 vcc, 0, v44
	v_and_b32_e32 v41, 0x80000000, v41
	v_xor_b32_e32 v39, v39, v38
	v_cndmask_b32_e32 v42, v43, v42, vcc
	v_xor_b32_e32 v39, v39, v41
	v_xor_b32_e32 v39, v39, v42
	v_cmp_class_f32_e64 vcc, v38, s30
	v_mul_f32_e32 v38, v37, v37
	v_mul_f32_e32 v41, v36, v36
	v_cndmask_b32_e32 v44, v27, v39, vcc
	v_fmamk_f32 v39, v38, 0xb94c1982, v22
	v_fmaak_f32 v39, v38, v39, 0xbe2aaa9d
	v_mul_f32_e32 v39, v38, v39
	v_fmac_f32_e32 v37, v37, v39
	v_fmamk_f32 v39, v38, 0x37d75334, v23
	v_fmaak_f32 v39, v38, v39, 0x3d2aabf7
	v_fmaak_f32 v39, v38, v39, 0xbf000004
	v_fma_f32 v38, v38, v39, 1.0
	v_and_b32_e32 v39, 1, v20
	v_cmp_eq_u32_e64 s[2:3], 0, v39
	v_lshlrev_b32_e32 v20, 30, v20
	v_and_b32_e32 v20, 0x80000000, v20
	v_cndmask_b32_e64 v37, -v37, v38, s[2:3]
	v_xor_b32_e32 v20, v20, v37
	v_fmamk_f32 v37, v41, 0xb94c1982, v22
	v_fmaak_f32 v37, v41, v37, 0xbe2aaa9d
	v_lshl_add_u64 v[38:39], s[46:47], 0, v[16:17]
	v_mul_f32_e32 v42, v41, v37
	global_load_dword v37, v[38:39], off
	v_fmamk_f32 v38, v41, 0x37d75334, v23
	v_fmaak_f32 v38, v41, v38, 0x3d2aabf7
	v_fmaak_f32 v38, v41, v38, 0xbf000004
	v_fmac_f32_e32 v36, v36, v42
	v_fma_f32 v41, v41, v38, 1.0
	v_and_b32_e32 v42, 1, v35
	v_lshl_add_u64 v[38:39], s[48:49], 0, v[16:17]
	global_load_dword v39, v[38:39], off
	v_cmp_eq_u32_e64 s[4:5], 0, v42
	v_lshl_add_u64 v[42:43], s[50:51], 0, v[16:17]
	v_lshlrev_b32_e32 v35, 30, v35
	v_cndmask_b32_e64 v36, v41, v36, s[4:5]
	global_load_dword v41, v[42:43], off
	v_cmp_class_f32_e64 s[2:3], v33, s30
	v_and_b32_e32 v35, 0x80000000, v35
	v_xor_b32_e32 v33, v34, v33
	v_mul_f32_e32 v34, v32, v32
	v_xor_b32_e32 v33, v33, v35
	v_fmamk_f32 v35, v34, 0xb94c1982, v22
	v_fmaak_f32 v35, v34, v35, 0xbe2aaa9d
	v_mul_f32_e32 v35, v34, v35
	v_fmac_f32_e32 v32, v32, v35
	v_fmamk_f32 v35, v34, 0x37d75334, v23
	v_fmaak_f32 v35, v34, v35, 0x3d2aabf7
	v_fmaak_f32 v35, v34, v35, 0xbf000004
	v_xor_b32_e32 v33, v33, v36
	v_fma_f32 v34, v34, v35, 1.0
	v_and_b32_e32 v35, 1, v31
	v_cndmask_b32_e64 v20, v27, v20, s[2:3]
	v_cndmask_b32_e64 v33, v27, v33, s[2:3]
	v_cmp_eq_u32_e64 s[2:3], 0, v35
	v_lshlrev_b32_e32 v31, 30, v31
	v_and_b32_e32 v31, 0x80000000, v31
	v_cndmask_b32_e64 v32, -v32, v34, s[2:3]
	v_xor_b32_e32 v31, v31, v32
	v_mul_f32_e32 v32, v30, v30
	v_fmamk_f32 v34, v32, 0xb94c1982, v22
	v_fmaak_f32 v34, v32, v34, 0xbe2aaa9d
	v_mul_f32_e32 v34, v32, v34
	v_fmac_f32_e32 v30, v30, v34
	v_fmamk_f32 v34, v32, 0x37d75334, v23
	v_fmaak_f32 v34, v32, v34, 0x3d2aabf7
	v_fmaak_f32 v34, v32, v34, 0xbf000004
	v_fma_f32 v32, v32, v34, 1.0
	v_and_b32_e32 v34, 1, v29
	v_lshlrev_b32_e32 v29, 30, v29
	v_cmp_class_f32_e64 s[2:3], v21, s30
	v_cmp_eq_u32_e64 s[4:5], 0, v34
	v_and_b32_e32 v29, 0x80000000, v29
	v_xor_b32_e32 v21, v28, v21
	v_cndmask_b32_e64 v30, v32, v30, s[4:5]
	v_xor_b32_e32 v21, v21, v29
	v_xor_b32_e32 v21, v21, v30
	v_cndmask_b32_e64 v30, v27, v21, s[2:3]
	v_mul_f32_e32 v21, v40, v40
	v_fmamk_f32 v28, v21, 0xb94c1982, v22
	v_fmaak_f32 v28, v21, v28, 0xbe2aaa9d
	v_mul_f32_e32 v28, v21, v28
	v_fmac_f32_e32 v40, v40, v28
	v_fmamk_f32 v28, v21, 0x37d75334, v23
	v_fmaak_f32 v28, v21, v28, 0x3d2aabf7
	v_fmaak_f32 v28, v21, v28, 0xbf000004
	v_fma_f32 v21, v21, v28, 1.0
	v_and_b32_e32 v28, 1, v18
	v_cndmask_b32_e64 v31, v27, v31, s[2:3]
	v_cmp_eq_u32_e64 s[2:3], 0, v28
	v_lshlrev_b32_e32 v18, 30, v18
	v_and_b32_e32 v18, 0x80000000, v18
	v_cndmask_b32_e64 v21, -v40, v21, s[2:3]
	v_xor_b32_e32 v18, v18, v21
	v_cndmask_b32_e32 v28, v27, v18, vcc
	v_mul_f32_e32 v32, v30, v33
	v_mul_f32_e32 v21, v32, v28
	;; [unrolled: 1-line block ×4, first 2 shown]
	v_pk_add_f32 v[34:35], v[20:21], v[28:29] neg_lo:[0,1] neg_hi:[0,1]
	v_mul_f32_e32 v36, v38, v28
	s_add_i32 s2, s31, 0
	v_fmac_f32_e32 v36, v30, v44
	v_mul_f32_e32 v34, v20, v28
	v_mul_f32_e32 v21, v32, v44
	v_mul_f32_e32 v29, v31, v28
	v_add_u32_e32 v18, s31, v24
	s_waitcnt vmcnt(2)
	scratch_store_dwordx4 off, v[34:37], s2
	s_add_i32 s31, s31, 48
	v_lshl_add_u64 v[16:17], v[16:17], 0, s[8:9]
	v_pk_add_f32 v[36:37], v[20:21], v[28:29]
	v_mul_f32_e32 v21, v30, v28
	v_add_u32_e32 v34, 16, v18
	v_fma_f32 v38, v38, v44, -v21
	v_mul_f32_e32 v36, v20, v44
	v_pk_mul_f32 v[20:21], v[30:31], v[20:21] op_sel_hi:[1,0]
	s_waitcnt vmcnt(2)
	scratch_store_dwordx4 v34, v[36:39], off
	v_add_u32_e32 v18, 32, v18
	v_mov_b32_e32 v40, v21
	v_xor_b32_e32 v38, 0x80000000, v33
	v_mov_b32_e32 v39, v20
	s_waitcnt vmcnt(2)
	scratch_store_dwordx4 v18, v[38:41], off
	s_set_gpr_idx_on s10, gpr_idx(DST)
	v_mov_b32_e32 v0, 0
	s_set_gpr_idx_off
	s_add_u32 s10, s10, 1
	s_addc_u32 s11, s11, 0
	s_cmpk_lg_i32 s31, 0x300
	s_cbranch_scc0 .LBB4_26
.LBB4_2:                                ; =>This Inner Loop Header: Depth=1
	v_lshl_add_u64 v[20:21], s[40:41], 0, v[16:17]
	global_load_dword v21, v[20:21], off
                                        ; implicit-def: $vgpr29
                                        ; implicit-def: $vgpr30
	s_waitcnt vmcnt(0)
	v_and_b32_e32 v28, 0x7fffffff, v21
	v_lshrrev_b32_e32 v18, 23, v28
	v_and_b32_e32 v20, 0x7fffff, v28
	v_cmp_nlt_f32_e64 s[14:15], |v21|, s18
	v_add_u32_e32 v33, 0xffffff88, v18
	v_or_b32_e32 v20, 0x800000, v20
	s_and_saveexec_b64 s[2:3], s[14:15]
	s_xor_b64 s[16:17], exec, s[2:3]
	s_cbranch_execz .LBB4_4
; %bb.3:                                ;   in Loop: Header=BB4_2 Depth=1
	v_cmp_lt_u32_e32 vcc, 63, v33
	v_mad_u64_u32 v[30:31], s[6:7], v20, s19, 0
	s_nop 0
	v_cndmask_b32_e32 v18, 0, v25, vcc
	v_add_u32_e32 v18, v18, v33
	v_cmp_lt_u32_e64 s[2:3], 31, v18
	s_nop 1
	v_cndmask_b32_e64 v29, 0, v26, s[2:3]
	v_add_u32_e32 v18, v29, v18
	v_cmp_lt_u32_e64 s[4:5], 31, v18
	s_nop 1
	v_cndmask_b32_e64 v29, 0, v26, s[4:5]
	v_add_u32_e32 v29, v29, v18
	v_mov_b32_e32 v18, v31
	v_mad_u64_u32 v[34:35], s[6:7], v20, s20, v[18:19]
	v_mov_b32_e32 v18, v35
	v_mad_u64_u32 v[36:37], s[6:7], v20, s21, v[18:19]
	;; [unrolled: 2-line block ×6, first 2 shown]
	v_cndmask_b32_e32 v31, v42, v38, vcc
	v_cndmask_b32_e32 v18, v44, v40, vcc
	;; [unrolled: 1-line block ×3, first 2 shown]
	v_cndmask_b32_e64 v32, v18, v31, s[2:3]
	v_cndmask_b32_e64 v18, v35, v18, s[2:3]
	v_cndmask_b32_e32 v35, v40, v36, vcc
	v_cndmask_b32_e64 v31, v31, v35, s[2:3]
	v_sub_u32_e32 v37, 32, v29
	v_cmp_eq_u32_e64 s[6:7], 0, v29
	v_cndmask_b32_e32 v29, v38, v34, vcc
	v_cndmask_b32_e64 v18, v18, v32, s[4:5]
	v_cndmask_b32_e64 v32, v32, v31, s[4:5]
	;; [unrolled: 1-line block ×3, first 2 shown]
	v_alignbit_b32 v39, v18, v32, v37
	v_cndmask_b32_e64 v31, v31, v34, s[4:5]
	v_cndmask_b32_e32 v30, v36, v30, vcc
	v_cndmask_b32_e64 v18, v39, v18, s[6:7]
	v_alignbit_b32 v35, v32, v31, v37
	v_cndmask_b32_e64 v29, v29, v30, s[2:3]
	v_cndmask_b32_e64 v32, v35, v32, s[6:7]
	v_bfe_u32 v39, v18, 29, 1
	v_cndmask_b32_e64 v29, v34, v29, s[4:5]
	v_alignbit_b32 v35, v18, v32, 30
	v_sub_u32_e32 v40, 0, v39
	v_alignbit_b32 v30, v31, v29, v37
	v_xor_b32_e32 v41, v35, v40
	v_cndmask_b32_e64 v30, v30, v31, s[6:7]
	v_alignbit_b32 v31, v32, v30, 30
	v_ffbh_u32_e32 v32, v41
	v_add_u32_e32 v32, 1, v32
	v_cmp_ne_u32_e32 vcc, v35, v40
	v_alignbit_b32 v29, v30, v29, 30
	v_xor_b32_e32 v31, v31, v40
	v_cndmask_b32_e32 v32, 33, v32, vcc
	v_sub_u32_e32 v34, 32, v32
	v_xor_b32_e32 v29, v29, v40
	v_alignbit_b32 v35, v41, v31, v34
	v_alignbit_b32 v29, v31, v29, v34
	v_alignbit_b32 v30, v35, v29, 9
	v_ffbh_u32_e32 v31, v30
	v_min_u32_e32 v31, 32, v31
	v_lshrrev_b32_e32 v38, 29, v18
	v_sub_u32_e32 v34, 31, v31
	v_alignbit_b32 v29, v30, v29, v34
	v_lshlrev_b32_e32 v30, 31, v38
	v_or_b32_e32 v34, 0x33800000, v30
	v_add_lshl_u32 v31, v31, v32, 23
	v_lshrrev_b32_e32 v29, 9, v29
	v_sub_u32_e32 v31, v34, v31
	v_or_b32_e32 v29, v31, v29
	v_alignbit_b32 v31, v32, v35, 9
	v_or_b32_e32 v30, v31, v30
	v_xor_b32_e32 v30, 1.0, v30
	v_mul_f32_e32 v31, 0x3fc90fda, v30
	v_fma_f32 v32, v30, s26, -v31
	v_fmac_f32_e32 v32, 0x33a22168, v30
	v_fmac_f32_e32 v32, 0x3fc90fda, v29
	v_lshrrev_b32_e32 v18, 30, v18
	v_add_f32_e32 v30, v31, v32
	v_add_u32_e32 v29, v39, v18
.LBB4_4:                                ;   in Loop: Header=BB4_2 Depth=1
	s_or_saveexec_b64 s[2:3], s[16:17]
	v_mul_f32_e64 v18, |v21|, s27
	v_rndne_f32_e32 v18, v18
	s_xor_b64 exec, exec, s[2:3]
; %bb.5:                                ;   in Loop: Header=BB4_2 Depth=1
	v_cvt_i32_f32_e32 v29, v18
	v_fma_f32 v30, v18, s28, |v21|
	v_fmac_f32_e32 v30, 0xb3a22168, v18
	v_fmac_f32_e32 v30, 0xa7c234c4, v18
; %bb.6:                                ;   in Loop: Header=BB4_2 Depth=1
	s_or_b64 exec, exec, s[2:3]
                                        ; implicit-def: $vgpr31
                                        ; implicit-def: $vgpr32
	s_and_saveexec_b64 s[2:3], s[14:15]
	s_xor_b64 s[14:15], exec, s[2:3]
	s_cbranch_execz .LBB4_8
; %bb.7:                                ;   in Loop: Header=BB4_2 Depth=1
	v_cmp_lt_u32_e32 vcc, 63, v33
	s_nop 1
	v_cndmask_b32_e32 v18, 0, v25, vcc
	v_add_u32_e32 v18, v18, v33
	v_cmp_lt_u32_e64 s[2:3], 31, v18
	v_mad_u64_u32 v[32:33], s[6:7], v20, s19, 0
	s_nop 0
	v_cndmask_b32_e64 v31, 0, v26, s[2:3]
	v_add_u32_e32 v18, v31, v18
	v_cmp_lt_u32_e64 s[4:5], 31, v18
	s_nop 1
	v_cndmask_b32_e64 v31, 0, v26, s[4:5]
	v_add_u32_e32 v31, v31, v18
	v_mov_b32_e32 v18, v33
	v_mad_u64_u32 v[34:35], s[6:7], v20, s20, v[18:19]
	v_mov_b32_e32 v18, v35
	v_mad_u64_u32 v[36:37], s[6:7], v20, s21, v[18:19]
	;; [unrolled: 2-line block ×6, first 2 shown]
	v_cndmask_b32_e32 v33, v42, v38, vcc
	v_cndmask_b32_e32 v18, v44, v40, vcc
	;; [unrolled: 1-line block ×3, first 2 shown]
	v_cndmask_b32_e64 v20, v18, v33, s[2:3]
	v_cndmask_b32_e64 v18, v35, v18, s[2:3]
	v_cndmask_b32_e32 v35, v40, v36, vcc
	v_cndmask_b32_e64 v33, v33, v35, s[2:3]
	v_sub_u32_e32 v37, 32, v31
	v_cmp_eq_u32_e64 s[6:7], 0, v31
	v_cndmask_b32_e32 v31, v38, v34, vcc
	v_cndmask_b32_e64 v18, v18, v20, s[4:5]
	v_cndmask_b32_e64 v20, v20, v33, s[4:5]
	;; [unrolled: 1-line block ×3, first 2 shown]
	v_alignbit_b32 v39, v18, v20, v37
	v_cndmask_b32_e64 v33, v33, v34, s[4:5]
	v_cndmask_b32_e64 v18, v39, v18, s[6:7]
	v_alignbit_b32 v35, v20, v33, v37
	v_cndmask_b32_e32 v32, v36, v32, vcc
	v_cndmask_b32_e64 v20, v35, v20, s[6:7]
	v_bfe_u32 v39, v18, 29, 1
	v_cndmask_b32_e64 v31, v31, v32, s[2:3]
	v_alignbit_b32 v35, v18, v20, 30
	v_sub_u32_e32 v40, 0, v39
	v_cndmask_b32_e64 v31, v34, v31, s[4:5]
	v_xor_b32_e32 v41, v35, v40
	v_alignbit_b32 v32, v33, v31, v37
	v_cndmask_b32_e64 v32, v32, v33, s[6:7]
	v_ffbh_u32_e32 v33, v41
	v_add_u32_e32 v33, 1, v33
	v_cmp_ne_u32_e32 vcc, v35, v40
	v_alignbit_b32 v20, v20, v32, 30
	v_alignbit_b32 v31, v32, v31, 30
	v_cndmask_b32_e32 v33, 33, v33, vcc
	v_xor_b32_e32 v20, v20, v40
	v_sub_u32_e32 v34, 32, v33
	v_xor_b32_e32 v31, v31, v40
	v_alignbit_b32 v35, v41, v20, v34
	v_alignbit_b32 v20, v20, v31, v34
	;; [unrolled: 1-line block ×3, first 2 shown]
	v_ffbh_u32_e32 v32, v31
	v_min_u32_e32 v32, 32, v32
	v_lshrrev_b32_e32 v38, 29, v18
	v_sub_u32_e32 v34, 31, v32
	v_alignbit_b32 v20, v31, v20, v34
	v_lshlrev_b32_e32 v31, 31, v38
	v_or_b32_e32 v34, 0x33800000, v31
	v_add_lshl_u32 v32, v32, v33, 23
	v_lshrrev_b32_e32 v20, 9, v20
	v_sub_u32_e32 v32, v34, v32
	v_or_b32_e32 v20, v32, v20
	v_alignbit_b32 v32, v33, v35, 9
	v_or_b32_e32 v31, v32, v31
	v_xor_b32_e32 v31, 1.0, v31
	v_mul_f32_e32 v32, 0x3fc90fda, v31
	v_fma_f32 v33, v31, s26, -v32
	v_fmac_f32_e32 v33, 0x33a22168, v31
	v_fmac_f32_e32 v33, 0x3fc90fda, v20
	v_lshrrev_b32_e32 v18, 30, v18
	v_add_f32_e32 v32, v32, v33
	v_add_u32_e32 v31, v39, v18
                                        ; implicit-def: $vgpr18
	s_andn2_saveexec_b64 s[2:3], s[14:15]
	s_cbranch_execnz .LBB4_9
	s_branch .LBB4_10
.LBB4_8:                                ;   in Loop: Header=BB4_2 Depth=1
	s_andn2_saveexec_b64 s[2:3], s[14:15]
.LBB4_9:                                ;   in Loop: Header=BB4_2 Depth=1
	v_cvt_i32_f32_e32 v31, v18
	v_fma_f32 v32, v18, s28, |v21|
	v_fmac_f32_e32 v32, 0xb3a22168, v18
	v_fmac_f32_e32 v32, 0xa7c234c4, v18
.LBB4_10:                               ;   in Loop: Header=BB4_2 Depth=1
	s_or_b64 exec, exec, s[2:3]
	v_lshl_add_u64 v[34:35], s[42:43], 0, v[16:17]
	global_load_dword v33, v[34:35], off
                                        ; implicit-def: $vgpr35
                                        ; implicit-def: $vgpr36
	s_waitcnt vmcnt(0)
	v_and_b32_e32 v34, 0x7fffffff, v33
	v_lshrrev_b32_e32 v18, 23, v34
	v_and_b32_e32 v20, 0x7fffff, v34
	v_cmp_nlt_f32_e64 s[14:15], |v33|, s18
	v_add_u32_e32 v39, 0xffffff88, v18
	v_or_b32_e32 v38, 0x800000, v20
	s_and_saveexec_b64 s[2:3], s[14:15]
	s_xor_b64 s[16:17], exec, s[2:3]
	s_cbranch_execz .LBB4_12
; %bb.11:                               ;   in Loop: Header=BB4_2 Depth=1
	v_cmp_lt_u32_e32 vcc, 63, v39
	v_mad_u64_u32 v[36:37], s[6:7], v38, s19, 0
	s_nop 0
	v_cndmask_b32_e32 v18, 0, v25, vcc
	v_add_u32_e32 v18, v18, v39
	v_cmp_lt_u32_e64 s[2:3], 31, v18
	s_nop 1
	v_cndmask_b32_e64 v20, 0, v26, s[2:3]
	v_add_u32_e32 v18, v20, v18
	v_cmp_lt_u32_e64 s[4:5], 31, v18
	s_nop 1
	v_cndmask_b32_e64 v20, 0, v26, s[4:5]
	v_add_u32_e32 v20, v20, v18
	v_mov_b32_e32 v18, v37
	v_mad_u64_u32 v[40:41], s[6:7], v38, s20, v[18:19]
	v_mov_b32_e32 v18, v41
	v_mad_u64_u32 v[42:43], s[6:7], v38, s21, v[18:19]
	;; [unrolled: 2-line block ×6, first 2 shown]
	v_cndmask_b32_e32 v35, v48, v44, vcc
	v_cndmask_b32_e32 v18, v50, v46, vcc
	;; [unrolled: 1-line block ×3, first 2 shown]
	v_cndmask_b32_e64 v37, v18, v35, s[2:3]
	v_cndmask_b32_e64 v18, v41, v18, s[2:3]
	v_cndmask_b32_e32 v41, v46, v42, vcc
	v_cndmask_b32_e64 v35, v35, v41, s[2:3]
	v_sub_u32_e32 v43, 32, v20
	v_cmp_eq_u32_e64 s[6:7], 0, v20
	v_cndmask_b32_e32 v20, v44, v40, vcc
	v_cndmask_b32_e64 v18, v18, v37, s[4:5]
	v_cndmask_b32_e64 v37, v37, v35, s[4:5]
	;; [unrolled: 1-line block ×3, first 2 shown]
	v_alignbit_b32 v45, v18, v37, v43
	v_cndmask_b32_e64 v35, v35, v40, s[4:5]
	v_cndmask_b32_e32 v36, v42, v36, vcc
	v_cndmask_b32_e64 v18, v45, v18, s[6:7]
	v_alignbit_b32 v41, v37, v35, v43
	v_cndmask_b32_e64 v20, v20, v36, s[2:3]
	v_cndmask_b32_e64 v37, v41, v37, s[6:7]
	v_bfe_u32 v45, v18, 29, 1
	v_cndmask_b32_e64 v20, v40, v20, s[4:5]
	v_alignbit_b32 v41, v18, v37, 30
	v_sub_u32_e32 v46, 0, v45
	v_alignbit_b32 v36, v35, v20, v43
	v_xor_b32_e32 v47, v41, v46
	v_cndmask_b32_e64 v35, v36, v35, s[6:7]
	v_alignbit_b32 v36, v37, v35, 30
	v_ffbh_u32_e32 v37, v47
	v_add_u32_e32 v37, 1, v37
	v_cmp_ne_u32_e32 vcc, v41, v46
	v_alignbit_b32 v20, v35, v20, 30
	v_xor_b32_e32 v36, v36, v46
	v_cndmask_b32_e32 v37, 33, v37, vcc
	v_sub_u32_e32 v40, 32, v37
	v_xor_b32_e32 v20, v20, v46
	v_alignbit_b32 v41, v47, v36, v40
	v_alignbit_b32 v20, v36, v20, v40
	;; [unrolled: 1-line block ×3, first 2 shown]
	v_ffbh_u32_e32 v36, v35
	v_min_u32_e32 v36, 32, v36
	v_lshrrev_b32_e32 v44, 29, v18
	v_sub_u32_e32 v40, 31, v36
	v_alignbit_b32 v20, v35, v20, v40
	v_lshlrev_b32_e32 v35, 31, v44
	v_or_b32_e32 v40, 0x33800000, v35
	v_add_lshl_u32 v36, v36, v37, 23
	v_lshrrev_b32_e32 v20, 9, v20
	v_sub_u32_e32 v36, v40, v36
	v_or_b32_e32 v20, v36, v20
	v_alignbit_b32 v36, v37, v41, 9
	v_or_b32_e32 v35, v36, v35
	v_xor_b32_e32 v35, 1.0, v35
	v_mul_f32_e32 v36, 0x3fc90fda, v35
	v_fma_f32 v37, v35, s26, -v36
	v_fmac_f32_e32 v37, 0x33a22168, v35
	v_fmac_f32_e32 v37, 0x3fc90fda, v20
	v_lshrrev_b32_e32 v18, 30, v18
	v_add_f32_e32 v36, v36, v37
	v_add_u32_e32 v35, v45, v18
.LBB4_12:                               ;   in Loop: Header=BB4_2 Depth=1
	s_or_saveexec_b64 s[2:3], s[16:17]
	v_mul_f32_e64 v18, |v33|, s27
	v_rndne_f32_e32 v18, v18
	s_xor_b64 exec, exec, s[2:3]
; %bb.13:                               ;   in Loop: Header=BB4_2 Depth=1
	v_cvt_i32_f32_e32 v35, v18
	v_fma_f32 v36, v18, s28, |v33|
	v_fmac_f32_e32 v36, 0xb3a22168, v18
	v_fmac_f32_e32 v36, 0xa7c234c4, v18
; %bb.14:                               ;   in Loop: Header=BB4_2 Depth=1
	s_or_b64 exec, exec, s[2:3]
                                        ; implicit-def: $vgpr20
                                        ; implicit-def: $vgpr37
	s_and_saveexec_b64 s[2:3], s[14:15]
	s_xor_b64 s[14:15], exec, s[2:3]
	s_cbranch_execz .LBB4_16
; %bb.15:                               ;   in Loop: Header=BB4_2 Depth=1
	v_cmp_lt_u32_e32 vcc, 63, v39
	v_mad_u64_u32 v[40:41], s[6:7], v38, s19, 0
	s_nop 0
	v_cndmask_b32_e32 v18, 0, v25, vcc
	v_add_u32_e32 v18, v18, v39
	v_cmp_lt_u32_e64 s[2:3], 31, v18
	s_nop 1
	v_cndmask_b32_e64 v20, 0, v26, s[2:3]
	v_add_u32_e32 v18, v20, v18
	v_cmp_lt_u32_e64 s[4:5], 31, v18
	s_nop 1
	v_cndmask_b32_e64 v20, 0, v26, s[4:5]
	v_add_u32_e32 v20, v20, v18
	v_mov_b32_e32 v18, v41
	v_mad_u64_u32 v[42:43], s[6:7], v38, s20, v[18:19]
	v_mov_b32_e32 v18, v43
	v_mad_u64_u32 v[44:45], s[6:7], v38, s21, v[18:19]
	;; [unrolled: 2-line block ×6, first 2 shown]
	v_cndmask_b32_e32 v37, v50, v46, vcc
	v_cndmask_b32_e32 v18, v38, v48, vcc
	;; [unrolled: 1-line block ×3, first 2 shown]
	v_cndmask_b32_e64 v38, v18, v37, s[2:3]
	v_cndmask_b32_e64 v18, v39, v18, s[2:3]
	v_cndmask_b32_e32 v39, v48, v44, vcc
	v_cndmask_b32_e64 v37, v37, v39, s[2:3]
	v_sub_u32_e32 v41, 32, v20
	v_cmp_eq_u32_e64 s[6:7], 0, v20
	v_cndmask_b32_e32 v20, v46, v42, vcc
	v_cndmask_b32_e64 v18, v18, v38, s[4:5]
	v_cndmask_b32_e64 v38, v38, v37, s[4:5]
	v_cndmask_b32_e64 v39, v39, v20, s[2:3]
	v_alignbit_b32 v43, v18, v38, v41
	v_cndmask_b32_e64 v37, v37, v39, s[4:5]
	v_cndmask_b32_e64 v18, v43, v18, s[6:7]
	v_alignbit_b32 v42, v38, v37, v41
	v_cndmask_b32_e32 v40, v44, v40, vcc
	v_cndmask_b32_e64 v38, v42, v38, s[6:7]
	v_bfe_u32 v45, v18, 29, 1
	v_cndmask_b32_e64 v20, v20, v40, s[2:3]
	v_alignbit_b32 v42, v18, v38, 30
	v_sub_u32_e32 v46, 0, v45
	v_cndmask_b32_e64 v20, v39, v20, s[4:5]
	v_xor_b32_e32 v47, v42, v46
	v_alignbit_b32 v39, v37, v20, v41
	v_cndmask_b32_e64 v37, v39, v37, s[6:7]
	v_ffbh_u32_e32 v39, v47
	v_add_u32_e32 v39, 1, v39
	v_cmp_ne_u32_e32 vcc, v42, v46
	v_alignbit_b32 v38, v38, v37, 30
	v_alignbit_b32 v20, v37, v20, 30
	v_cndmask_b32_e32 v39, 33, v39, vcc
	v_xor_b32_e32 v38, v38, v46
	v_sub_u32_e32 v40, 32, v39
	v_xor_b32_e32 v20, v20, v46
	v_alignbit_b32 v41, v47, v38, v40
	v_alignbit_b32 v20, v38, v20, v40
	;; [unrolled: 1-line block ×3, first 2 shown]
	v_ffbh_u32_e32 v38, v37
	v_min_u32_e32 v38, 32, v38
	v_lshrrev_b32_e32 v43, 29, v18
	v_sub_u32_e32 v40, 31, v38
	v_alignbit_b32 v20, v37, v20, v40
	v_lshlrev_b32_e32 v37, 31, v43
	v_or_b32_e32 v40, 0x33800000, v37
	v_add_lshl_u32 v38, v38, v39, 23
	v_lshrrev_b32_e32 v20, 9, v20
	v_sub_u32_e32 v38, v40, v38
	v_or_b32_e32 v20, v38, v20
	v_alignbit_b32 v38, v39, v41, 9
	v_or_b32_e32 v37, v38, v37
	v_xor_b32_e32 v37, 1.0, v37
	v_mul_f32_e32 v38, 0x3fc90fda, v37
	v_fma_f32 v39, v37, s26, -v38
	v_fmac_f32_e32 v39, 0x33a22168, v37
	v_fmac_f32_e32 v39, 0x3fc90fda, v20
	v_lshrrev_b32_e32 v18, 30, v18
	v_add_f32_e32 v37, v38, v39
	v_add_u32_e32 v20, v45, v18
                                        ; implicit-def: $vgpr18
	s_andn2_saveexec_b64 s[2:3], s[14:15]
	s_cbranch_execnz .LBB4_17
	s_branch .LBB4_18
.LBB4_16:                               ;   in Loop: Header=BB4_2 Depth=1
	s_andn2_saveexec_b64 s[2:3], s[14:15]
.LBB4_17:                               ;   in Loop: Header=BB4_2 Depth=1
	v_cvt_i32_f32_e32 v20, v18
	v_fma_f32 v37, v18, s28, |v33|
	v_fmac_f32_e32 v37, 0xb3a22168, v18
	v_fmac_f32_e32 v37, 0xa7c234c4, v18
.LBB4_18:                               ;   in Loop: Header=BB4_2 Depth=1
	s_or_b64 exec, exec, s[2:3]
	v_lshl_add_u64 v[38:39], s[44:45], 0, v[16:17]
	global_load_dword v38, v[38:39], off
                                        ; implicit-def: $vgpr41
                                        ; implicit-def: $vgpr42
	s_waitcnt vmcnt(0)
	v_and_b32_e32 v39, 0x7fffffff, v38
	v_lshrrev_b32_e32 v18, 23, v39
	v_and_b32_e32 v40, 0x7fffff, v39
	v_cmp_nlt_f32_e64 s[14:15], |v38|, s18
	v_add_u32_e32 v44, 0xffffff88, v18
	v_or_b32_e32 v43, 0x800000, v40
	s_and_saveexec_b64 s[2:3], s[14:15]
	s_xor_b64 s[16:17], exec, s[2:3]
	s_cbranch_execz .LBB4_20
; %bb.19:                               ;   in Loop: Header=BB4_2 Depth=1
	v_cmp_lt_u32_e32 vcc, 63, v44
	s_nop 1
	v_cndmask_b32_e32 v18, 0, v25, vcc
	v_add_u32_e32 v18, v18, v44
	v_cmp_lt_u32_e64 s[2:3], 31, v18
	s_nop 1
	v_cndmask_b32_e64 v40, 0, v26, s[2:3]
	v_add_u32_e32 v18, v40, v18
	v_cmp_lt_u32_e64 s[4:5], 31, v18
	s_nop 1
	v_cndmask_b32_e64 v40, 0, v26, s[4:5]
	v_add_u32_e32 v42, v40, v18
	v_mad_u64_u32 v[40:41], s[6:7], v43, s19, 0
	v_mov_b32_e32 v18, v41
	v_mad_u64_u32 v[46:47], s[6:7], v43, s20, v[18:19]
	v_mov_b32_e32 v18, v47
	;; [unrolled: 2-line block ×6, first 2 shown]
	v_mad_u64_u32 v[56:57], s[6:7], v43, s25, v[18:19]
	v_cndmask_b32_e32 v41, v54, v50, vcc
	v_cndmask_b32_e32 v18, v56, v52, vcc
	v_cndmask_b32_e32 v47, v57, v54, vcc
	v_cndmask_b32_e64 v45, v18, v41, s[2:3]
	v_cndmask_b32_e64 v18, v47, v18, s[2:3]
	v_cndmask_b32_e32 v47, v52, v48, vcc
	v_cndmask_b32_e64 v41, v41, v47, s[2:3]
	v_sub_u32_e32 v49, 32, v42
	v_cmp_eq_u32_e64 s[6:7], 0, v42
	v_cndmask_b32_e32 v42, v50, v46, vcc
	v_cndmask_b32_e64 v18, v18, v45, s[4:5]
	v_cndmask_b32_e64 v45, v45, v41, s[4:5]
	;; [unrolled: 1-line block ×3, first 2 shown]
	v_alignbit_b32 v51, v18, v45, v49
	v_cndmask_b32_e64 v41, v41, v46, s[4:5]
	v_cndmask_b32_e32 v40, v48, v40, vcc
	v_cndmask_b32_e64 v18, v51, v18, s[6:7]
	v_alignbit_b32 v47, v45, v41, v49
	v_cndmask_b32_e64 v40, v42, v40, s[2:3]
	v_cndmask_b32_e64 v45, v47, v45, s[6:7]
	v_bfe_u32 v51, v18, 29, 1
	v_cndmask_b32_e64 v40, v46, v40, s[4:5]
	v_alignbit_b32 v47, v18, v45, 30
	v_sub_u32_e32 v52, 0, v51
	v_alignbit_b32 v42, v41, v40, v49
	v_xor_b32_e32 v53, v47, v52
	v_cndmask_b32_e64 v41, v42, v41, s[6:7]
	v_alignbit_b32 v42, v45, v41, 30
	v_ffbh_u32_e32 v45, v53
	v_add_u32_e32 v45, 1, v45
	v_cmp_ne_u32_e32 vcc, v47, v52
	v_alignbit_b32 v40, v41, v40, 30
	v_xor_b32_e32 v42, v42, v52
	v_cndmask_b32_e32 v45, 33, v45, vcc
	v_sub_u32_e32 v46, 32, v45
	v_xor_b32_e32 v40, v40, v52
	v_alignbit_b32 v47, v53, v42, v46
	v_alignbit_b32 v40, v42, v40, v46
	;; [unrolled: 1-line block ×3, first 2 shown]
	v_ffbh_u32_e32 v42, v41
	v_min_u32_e32 v42, 32, v42
	v_lshrrev_b32_e32 v50, 29, v18
	v_sub_u32_e32 v46, 31, v42
	v_alignbit_b32 v40, v41, v40, v46
	v_lshlrev_b32_e32 v41, 31, v50
	v_or_b32_e32 v46, 0x33800000, v41
	v_add_lshl_u32 v42, v42, v45, 23
	v_lshrrev_b32_e32 v40, 9, v40
	v_sub_u32_e32 v42, v46, v42
	v_or_b32_e32 v40, v42, v40
	v_alignbit_b32 v42, v45, v47, 9
	v_or_b32_e32 v41, v42, v41
	v_xor_b32_e32 v41, 1.0, v41
	v_mul_f32_e32 v42, 0x3fc90fda, v41
	v_fma_f32 v45, v41, s26, -v42
	v_fmac_f32_e32 v45, 0x33a22168, v41
	v_fmac_f32_e32 v45, 0x3fc90fda, v40
	v_lshrrev_b32_e32 v18, 30, v18
	v_add_f32_e32 v42, v42, v45
	v_add_u32_e32 v41, v51, v18
.LBB4_20:                               ;   in Loop: Header=BB4_2 Depth=1
	s_or_saveexec_b64 s[2:3], s[16:17]
	v_mul_f32_e64 v18, |v38|, s27
	v_rndne_f32_e32 v45, v18
	s_xor_b64 exec, exec, s[2:3]
; %bb.21:                               ;   in Loop: Header=BB4_2 Depth=1
	v_cvt_i32_f32_e32 v41, v45
	v_fma_f32 v42, v45, s28, |v38|
	v_fmac_f32_e32 v42, 0xb3a22168, v45
	v_fmac_f32_e32 v42, 0xa7c234c4, v45
; %bb.22:                               ;   in Loop: Header=BB4_2 Depth=1
	s_or_b64 exec, exec, s[2:3]
                                        ; implicit-def: $vgpr18
                                        ; implicit-def: $vgpr40
	s_and_saveexec_b64 s[2:3], s[14:15]
	s_xor_b64 s[14:15], exec, s[2:3]
	s_cbranch_execz .LBB4_24
; %bb.23:                               ;   in Loop: Header=BB4_2 Depth=1
	v_cmp_lt_u32_e32 vcc, 63, v44
	s_nop 1
	v_cndmask_b32_e32 v18, 0, v25, vcc
	v_add_u32_e32 v18, v18, v44
	v_cmp_lt_u32_e64 s[2:3], 31, v18
	v_mad_u64_u32 v[44:45], s[6:7], v43, s19, 0
	s_nop 0
	v_cndmask_b32_e64 v40, 0, v26, s[2:3]
	v_add_u32_e32 v18, v40, v18
	v_cmp_lt_u32_e64 s[4:5], 31, v18
	s_nop 1
	v_cndmask_b32_e64 v40, 0, v26, s[4:5]
	v_add_u32_e32 v40, v40, v18
	v_mov_b32_e32 v18, v45
	v_mad_u64_u32 v[46:47], s[6:7], v43, s20, v[18:19]
	v_mov_b32_e32 v18, v47
	v_mad_u64_u32 v[48:49], s[6:7], v43, s21, v[18:19]
	;; [unrolled: 2-line block ×6, first 2 shown]
	v_cndmask_b32_e32 v45, v54, v50, vcc
	v_cndmask_b32_e32 v18, v56, v52, vcc
	;; [unrolled: 1-line block ×3, first 2 shown]
	v_cndmask_b32_e64 v43, v18, v45, s[2:3]
	v_cndmask_b32_e64 v18, v47, v18, s[2:3]
	v_cndmask_b32_e32 v47, v52, v48, vcc
	v_cndmask_b32_e64 v45, v45, v47, s[2:3]
	v_sub_u32_e32 v49, 32, v40
	v_cmp_eq_u32_e64 s[6:7], 0, v40
	v_cndmask_b32_e32 v40, v50, v46, vcc
	v_cndmask_b32_e64 v18, v18, v43, s[4:5]
	v_cndmask_b32_e64 v43, v43, v45, s[4:5]
	;; [unrolled: 1-line block ×3, first 2 shown]
	v_alignbit_b32 v51, v18, v43, v49
	v_cndmask_b32_e64 v45, v45, v46, s[4:5]
	v_cndmask_b32_e64 v18, v51, v18, s[6:7]
	v_alignbit_b32 v47, v43, v45, v49
	v_cndmask_b32_e32 v44, v48, v44, vcc
	v_cndmask_b32_e64 v43, v47, v43, s[6:7]
	v_bfe_u32 v51, v18, 29, 1
	v_cndmask_b32_e64 v40, v40, v44, s[2:3]
	v_alignbit_b32 v47, v18, v43, 30
	v_sub_u32_e32 v52, 0, v51
	v_cndmask_b32_e64 v40, v46, v40, s[4:5]
	v_xor_b32_e32 v53, v47, v52
	v_alignbit_b32 v44, v45, v40, v49
	v_cndmask_b32_e64 v44, v44, v45, s[6:7]
	v_ffbh_u32_e32 v45, v53
	v_add_u32_e32 v45, 1, v45
	v_cmp_ne_u32_e32 vcc, v47, v52
	v_alignbit_b32 v43, v43, v44, 30
	v_alignbit_b32 v40, v44, v40, 30
	v_cndmask_b32_e32 v45, 33, v45, vcc
	v_xor_b32_e32 v43, v43, v52
	v_sub_u32_e32 v46, 32, v45
	v_xor_b32_e32 v40, v40, v52
	v_alignbit_b32 v47, v53, v43, v46
	v_alignbit_b32 v40, v43, v40, v46
	;; [unrolled: 1-line block ×3, first 2 shown]
	v_ffbh_u32_e32 v44, v43
	v_min_u32_e32 v44, 32, v44
	v_lshrrev_b32_e32 v50, 29, v18
	v_sub_u32_e32 v46, 31, v44
	v_alignbit_b32 v40, v43, v40, v46
	v_lshlrev_b32_e32 v43, 31, v50
	v_or_b32_e32 v46, 0x33800000, v43
	v_add_lshl_u32 v44, v44, v45, 23
	v_lshrrev_b32_e32 v40, 9, v40
	v_sub_u32_e32 v44, v46, v44
	v_or_b32_e32 v40, v44, v40
	v_alignbit_b32 v44, v45, v47, 9
	v_or_b32_e32 v43, v44, v43
	v_xor_b32_e32 v43, 1.0, v43
	v_mul_f32_e32 v44, 0x3fc90fda, v43
	v_fma_f32 v45, v43, s26, -v44
	v_fmac_f32_e32 v45, 0x33a22168, v43
	v_fmac_f32_e32 v45, 0x3fc90fda, v40
	v_lshrrev_b32_e32 v18, 30, v18
	v_add_f32_e32 v40, v44, v45
	v_add_u32_e32 v18, v51, v18
                                        ; implicit-def: $vgpr45
	s_andn2_saveexec_b64 s[2:3], s[14:15]
	s_cbranch_execz .LBB4_1
	s_branch .LBB4_25
.LBB4_24:                               ;   in Loop: Header=BB4_2 Depth=1
	s_andn2_saveexec_b64 s[2:3], s[14:15]
	s_cbranch_execz .LBB4_1
.LBB4_25:                               ;   in Loop: Header=BB4_2 Depth=1
	v_cvt_i32_f32_e32 v18, v45
	v_fma_f32 v40, v45, s28, |v38|
	v_fmac_f32_e32 v40, 0xb3a22168, v45
	v_fmac_f32_e32 v40, 0xa7c234c4, v45
	s_branch .LBB4_1
.LBB4_26:
	scratch_load_dwordx4 v[16:19], off, off offset:636
	scratch_load_dwordx4 v[20:23], off, off offset:732
	;; [unrolled: 1-line block ×3, first 2 shown]
	scratch_load_dwordx3 v[28:30], off, off offset:716
	scratch_load_dwordx4 v[124:127], off, off offset:76
	scratch_load_dwordx4 v[36:39], off, off offset:172
	;; [unrolled: 1-line block ×8, first 2 shown]
	scratch_load_dwordx2 v[34:35], off, off offset:616
	s_load_dwordx2 s[2:3], s[0:1], 0x0
	s_load_dwordx4 s[20:23], s[0:1], 0x48
	scratch_load_dwordx3 v[64:66], off, off offset:188
	s_mov_b32 s27, 0
	s_mov_b32 s41, 0xf800000
	s_waitcnt lgkmcnt(0)
	s_max_i32 s33, s3, 1
	s_max_i32 s40, s2, 1
	s_add_u32 s24, s36, 8
	s_addc_u32 s25, s37, 0
	s_movk_i32 s36, 0x46
	s_movk_i32 s37, 0x45
	s_mov_b32 s28, 0x42340000
	s_mov_b32 s26, s27
	s_waitcnt vmcnt(13)
	v_mov_b32_e32 v114, v17
	v_mov_b32_e32 v115, v18
	s_waitcnt vmcnt(1)
	v_mov_b32_e32 v35, v59
	s_waitcnt vmcnt(0)
	scratch_store_dwordx3 off, v[64:66], off offset:1040 ; 12-byte Folded Spill
	scratch_load_dwordx3 v[64:66], off, off offset:380
	s_waitcnt vmcnt(0)
	scratch_store_dwordx3 off, v[64:66], off offset:1052 ; 12-byte Folded Spill
	scratch_load_dwordx2 v[64:65], off, off offset:724
	s_nop 0
	scratch_load_dwordx2 v[66:67], off, off offset:728
	scratch_load_dwordx2 v[68:69], off, off offset:600
	scratch_load_dwordx4 v[70:73], off, off offset:604
	scratch_load_dwordx2 v[74:75], off, off offset:520
	scratch_load_dwordx4 v[76:79], off, off offset:508
	scratch_load_dwordx4 v[80:83], off, off offset:444
	scratch_load_dwordx2 v[84:85], off, off offset:424
	scratch_load_dwordx4 v[86:89], off, off offset:428
	scratch_load_dwordx2 v[90:91], off, off offset:328
	scratch_load_dwordx4 v[92:95], off, off offset:316
	scratch_load_dwordx4 v[30:33], off, off offset:252
	;; [unrolled: 5-line block ×3, first 2 shown]
	scratch_load_dwordx2 v[112:113], off, off offset:40
	scratch_load_dwordx4 v[96:99], off, off offset:44
	scratch_load_dwordx4 v[100:103], off, off offset:700
	s_waitcnt vmcnt(19)
	v_mov_b32_e32 v65, v22
	scratch_store_dwordx2 off, v[114:115], off offset:1280 ; 8-byte Folded Spill
	v_mov_b32_e32 v114, v20
	v_mov_b32_e32 v115, v24
	s_waitcnt vmcnt(19)
	v_mov_b32_e32 v67, v23
	s_waitcnt vmcnt(3)
	v_mov_b32_e32 v113, v127
	v_mov_b32_e32 v111, v39
	;; [unrolled: 1-line block ×8, first 2 shown]
	scratch_store_dwordx4 off, v[24:27], off offset:876 ; 16-byte Folded Spill
	v_mov_b32_e32 v20, v29
	v_mov_b32_e32 v79, v54
	;; [unrolled: 1-line block ×5, first 2 shown]
	s_waitcnt vmcnt(2)
	scratch_store_dwordx4 off, v[100:103], off offset:1452 ; 16-byte Folded Spill
	scratch_store_dwordx2 off, v[114:115], off offset:1288 ; 8-byte Folded Spill
	scratch_store_dwordx3 off, v[28:30], off offset:892 ; 12-byte Folded Spill
	scratch_store_dwordx2 off, v[64:65], off offset:1064 ; 8-byte Folded Spill
	scratch_store_dwordx4 off, v[20:23], off offset:860 ; 16-byte Folded Spill
	scratch_store_dwordx2 off, v[66:67], off offset:1072 ; 8-byte Folded Spill
	scratch_store_dwordx2 off, v[112:113], off offset:1272 ; 8-byte Folded Spill
	;; [unrolled: 1-line block ×8, first 2 shown]
	scratch_store_dwordx4 off, v[56:59], off offset:1000 ; 16-byte Folded Spill
	scratch_store_dwordx4 off, v[70:73], off offset:1088 ; 16-byte Folded Spill
	;; [unrolled: 1-line block ×3, first 2 shown]
	scratch_store_dwordx2 off, v[68:69], off offset:1080 ; 8-byte Folded Spill
	scratch_load_dwordx2 v[16:17], off, off offset:584
	s_nop 0
	scratch_load_dwordx3 v[18:20], off, off offset:588
	s_waitcnt vmcnt(1)
	v_mov_b32_e32 v17, v63
	v_mov_b32_e32 v113, 0xff7fffff
	s_waitcnt vmcnt(0)
	scratch_store_dwordx3 off, v[18:20], off offset:1304 ; 12-byte Folded Spill
	scratch_store_dwordx4 off, v[60:63], off offset:1016 ; 16-byte Folded Spill
	scratch_store_dwordx2 off, v[16:17], off offset:1296 ; 8-byte Folded Spill
	scratch_store_dwordx4 off, v[52:55], off offset:984 ; 16-byte Folded Spill
	scratch_store_dwordx4 off, v[76:79], off offset:1112 ; 16-byte Folded Spill
	scratch_load_dwordx2 v[16:17], off, off offset:504
	s_nop 0
	scratch_load_dwordx3 v[18:20], off, off offset:492
	s_waitcnt vmcnt(0)
	scratch_store_dwordx3 off, v[18:20], off offset:1324 ; 12-byte Folded Spill
	scratch_load_dwordx4 v[18:21], off, off offset:540
	s_nop 0
	scratch_load_dwordx4 v[22:25], off, off offset:524
	s_waitcnt vmcnt(1)
	v_mov_b32_e32 v17, v21
	scratch_store_dwordx4 off, v[18:21], off offset:1336 ; 16-byte Folded Spill
	scratch_store_dwordx2 off, v[16:17], off offset:1316 ; 8-byte Folded Spill
	scratch_load_dwordx2 v[20:21], off, off offset:488
	s_nop 0
	scratch_load_dwordx3 v[16:18], off, off offset:476
	s_waitcnt vmcnt(1)
	v_mov_b32_e32 v21, v25
	scratch_store_dwordx4 off, v[48:51], off offset:968 ; 16-byte Folded Spill
	scratch_store_dwordx4 off, v[80:83], off offset:1128 ; 16-byte Folded Spill
	scratch_store_dwordx2 off, v[20:21], off offset:1368 ; 8-byte Folded Spill
	s_waitcnt vmcnt(3)
	scratch_store_dwordx3 off, v[16:18], off offset:1376 ; 12-byte Folded Spill
	s_nop 1
	v_mov_b32_e32 v16, v22
	v_mov_b32_e32 v17, v23
	;; [unrolled: 1-line block ×3, first 2 shown]
	scratch_store_dwordx4 off, v[16:19], off offset:784 ; 16-byte Folded Spill
	scratch_load_dwordx4 v[16:19], off, off offset:412
	s_waitcnt vmcnt(0)
	v_mov_b32_e32 v19, v50
	scratch_store_dwordx4 off, v[16:19], off offset:1416 ; 16-byte Folded Spill
	scratch_load_dwordx2 v[16:17], off, off offset:408
	s_waitcnt vmcnt(0)
	v_mov_b32_e32 v17, v83
	scratch_store_dwordx2 off, v[16:17], off offset:1388 ; 8-byte Folded Spill
	scratch_load_dwordx2 v[16:17], off, off offset:392
	s_nop 0
	scratch_load_dwordx3 v[18:20], off, off offset:396
	s_waitcnt vmcnt(1)
	v_mov_b32_e32 v17, v89
	s_waitcnt vmcnt(0)
	scratch_store_dwordx3 off, v[18:20], off offset:1404 ; 12-byte Folded Spill
	scratch_store_dwordx4 off, v[86:89], off offset:1152 ; 16-byte Folded Spill
	scratch_store_dwordx2 off, v[16:17], off offset:1396 ; 8-byte Folded Spill
	scratch_store_dwordx4 off, v[44:47], off offset:952 ; 16-byte Folded Spill
	scratch_store_dwordx4 off, v[92:95], off offset:1176 ; 16-byte Folded Spill
	scratch_load_dwordx2 v[16:17], off, off offset:312
	s_nop 0
	scratch_load_dwordx3 v[18:20], off, off offset:300
	s_waitcnt vmcnt(0)
	scratch_store_dwordx3 off, v[18:20], off offset:1440 ; 12-byte Folded Spill
	scratch_load_dwordx4 v[18:21], off, off offset:348
	s_nop 0
	scratch_load_dwordx4 v[22:25], off, off offset:332
	s_waitcnt vmcnt(1)
	v_mov_b32_e32 v17, v21
	scratch_store_dwordx4 off, v[18:21], off offset:1468 ; 16-byte Folded Spill
	scratch_store_dwordx2 off, v[16:17], off offset:1432 ; 8-byte Folded Spill
	scratch_load_dwordx2 v[20:21], off, off offset:296
	s_nop 0
	scratch_load_dwordx3 v[16:18], off, off offset:284
	s_waitcnt vmcnt(1)
	v_mov_b32_e32 v21, v25
	scratch_store_dwordx4 off, v[40:43], off offset:936 ; 16-byte Folded Spill
	scratch_store_dwordx2 off, v[20:21], off offset:1500 ; 8-byte Folded Spill
	s_waitcnt vmcnt(2)
	scratch_store_dwordx3 off, v[16:18], off offset:1508 ; 12-byte Folded Spill
	scratch_load_dwordx2 v[20:21], off, off offset:216
	s_waitcnt vmcnt(0)
	v_mov_b32_e32 v21, v33
	v_mov_b32_e32 v16, v22
	;; [unrolled: 1-line block ×4, first 2 shown]
	scratch_store_dwordx4 off, v[16:19], off offset:1484 ; 16-byte Folded Spill
	scratch_load_dwordx4 v[16:19], off, off offset:220
	v_mov_b32_e32 v43, 0x40b00000
	s_waitcnt vmcnt(0)
	v_mov_b32_e32 v19, v42
	scratch_store_dwordx2 off, v[20:21], off offset:1520 ; 8-byte Folded Spill
	scratch_store_dwordx4 off, v[16:19], off offset:1548 ; 16-byte Folded Spill
	s_nop 1
	v_mov_b32_e32 v16, v30
	v_mov_b32_e32 v17, v31
	;; [unrolled: 1-line block ×3, first 2 shown]
	scratch_store_dwordx4 off, v[16:19], off offset:1192 ; 16-byte Folded Spill
	scratch_load_dwordx2 v[20:21], off, off offset:200
	s_nop 0
	scratch_load_dwordx3 v[16:18], off, off offset:204
	s_waitcnt vmcnt(1)
	v_mov_b32_e32 v21, v109
	v_mov_b64_e32 v[32:33], v[124:125]
	v_mov_b32_e32 v31, 0
	s_waitcnt vmcnt(0)
	scratch_store_dwordx3 off, v[16:18], off offset:1536 ; 12-byte Folded Spill
	s_nop 1
	v_mov_b32_e32 v16, v106
	v_mov_b32_e32 v17, v107
	;; [unrolled: 1-line block ×3, first 2 shown]
	scratch_store_dwordx4 off, v[16:19], off offset:1216 ; 16-byte Folded Spill
	scratch_store_dwordx2 off, v[20:21], off offset:1528 ; 8-byte Folded Spill
	scratch_store_dwordx4 off, v[36:39], off offset:920 ; 16-byte Folded Spill
	scratch_store_dwordx4 off, v[116:119], off offset:1240 ; 16-byte Folded Spill
	scratch_load_dwordx2 v[16:17], off, off offset:120
	s_nop 0
	scratch_load_dwordx3 v[18:20], off, off offset:108
	v_mov_b32_e32 v119, 0x3e800000
	s_waitcnt vmcnt(0)
	scratch_store_dwordx3 off, v[18:20], off offset:1572 ; 12-byte Folded Spill
	scratch_load_dwordx4 v[18:21], off, off offset:156
	s_nop 0
	scratch_load_dwordx4 v[22:25], off, off offset:140
	s_waitcnt vmcnt(1)
	v_mov_b32_e32 v17, v21
	scratch_store_dwordx4 off, v[18:21], off offset:1584 ; 16-byte Folded Spill
	scratch_store_dwordx2 off, v[16:17], off offset:1564 ; 8-byte Folded Spill
	scratch_load_dwordx2 v[20:21], off, off offset:104
	s_nop 0
	scratch_load_dwordx3 v[16:18], off, off offset:92
	s_waitcnt vmcnt(1)
	v_mov_b32_e32 v21, v25
	scratch_store_dwordx4 off, v[32:35], off offset:904 ; 16-byte Folded Spill
	scratch_store_dwordx4 off, v[96:99], off offset:1352 ; 16-byte Folded Spill
	scratch_load_dword v39, off, off offset:764
	s_nop 0
	scratch_store_dwordx2 off, v[20:21], off offset:1616 ; 8-byte Folded Spill
	s_waitcnt vmcnt(4)
	scratch_store_dwordx3 off, v[16:18], off offset:1624 ; 12-byte Folded Spill
	scratch_load_dwordx2 v[20:21], off, off offset:24
	s_nop 0
	v_mov_b32_e32 v16, v22
	v_mov_b32_e32 v17, v23
	;; [unrolled: 1-line block ×3, first 2 shown]
	scratch_store_dwordx4 off, v[16:19], off offset:1600 ; 16-byte Folded Spill
	scratch_load_dwordx4 v[16:19], off, off offset:28
	s_waitcnt vmcnt(0)
	v_mov_b32_e32 v19, v126
	scratch_store_dwordx4 off, v[16:19], off offset:812 ; 16-byte Folded Spill
	s_nop 1
	v_mov_b32_e32 v16, v120
	v_mov_b32_e32 v17, v121
	;; [unrolled: 1-line block ×3, first 2 shown]
	scratch_store_dwordx4 off, v[16:19], off offset:1256 ; 16-byte Folded Spill
	scratch_load_dwordx3 v[16:18], off, off offset:12
	s_waitcnt vmcnt(0)
	scratch_store_dwordx3 off, v[16:18], off offset:800 ; 12-byte Folded Spill
	scratch_load_dwordx4 v[16:19], off, off
	s_waitcnt vmcnt(0)
	v_mov_b32_e32 v19, v99
	v_mov_b32_e32 v21, v123
	;; [unrolled: 1-line block ×3, first 2 shown]
	scratch_store_dwordx2 off, v[20:21], off offset:1636 ; 8-byte Folded Spill
	scratch_store_dwordx4 off, v[16:19], off offset:768 ; 16-byte Folded Spill
	scratch_load_dwordx3 v[16:18], off, off offset:572
	s_waitcnt vmcnt(0)
	scratch_store_dwordx3 off, v[16:18], off offset:1644 ; 12-byte Folded Spill
	scratch_load_dwordx4 v[16:19], off, off offset:668
	s_waitcnt vmcnt(0)
	scratch_store_dwordx4 off, v[16:19], off offset:1656 ; 16-byte Folded Spill
	scratch_load_dwordx4 v[16:19], off, off offset:684
	s_waitcnt vmcnt(0)
	scratch_store_dwordx4 off, v[16:19], off offset:1672 ; 16-byte Folded Spill
.LBB4_27:                               ; =>This Loop Header: Depth=1
                                        ;     Child Loop BB4_28 Depth 2
	s_lshl_b64 s[0:1], s[26:27], 4
	s_add_u32 s0, s38, s0
	s_addc_u32 s1, s39, s1
	global_load_dwordx4 v[44:47], v31, s[0:1]
	scratch_load_dwordx2 v[16:17], off, off offset:1280 ; 8-byte Folded Reload
	s_mov_b32 s42, s33
	s_mov_b64 s[30:31], s[24:25]
	s_waitcnt vmcnt(0)
	v_pk_mul_f32 v[24:25], v[44:45], v[16:17]
	scratch_load_dwordx4 v[16:19], off, off offset:1000 ; 16-byte Folded Reload
	s_waitcnt vmcnt(0)
	v_mov_b64_e32 v[20:21], v[16:17]
	v_add_f32_e32 v16, v20, v24
	v_add_f32_e32 v25, v16, v25
	v_ashrrev_i32_e32 v17, 31, v47
	v_mov_b32_e32 v16, v47
	scratch_store_dwordx2 off, v[16:17], off offset:828 ; 8-byte Folded Spill
	scratch_load_dwordx3 v[22:24], off, off offset:800 ; 12-byte Folded Reload
	s_nop 0
	scratch_load_dwordx4 v[16:19], off, off offset:768 ; 16-byte Folded Reload
	scratch_load_dwordx4 v[48:51], off, off offset:812 ; 16-byte Folded Reload
	scratch_load_dwordx3 v[110:112], off, off offset:1404 ; 12-byte Folded Reload
	scratch_load_dwordx3 v[40:42], off, off offset:1536 ; 12-byte Folded Reload
	;; [unrolled: 1-line block ×4, first 2 shown]
	scratch_load_dwordx4 v[68:71], off, off offset:1548 ; 16-byte Folded Reload
	scratch_load_dwordx3 v[28:30], off, off offset:1376 ; 12-byte Folded Reload
	s_waitcnt vmcnt(7)
	v_fma_f32 v32, v44, v16, v22
	scratch_load_dwordx4 v[16:19], off, off offset:1256 ; 16-byte Folded Reload
	s_waitcnt vmcnt(2)
	v_fma_f32 v62, v44, v41, v68
	v_fmac_f32_e32 v62, v45, v42
	s_waitcnt vmcnt(0)
	v_mov_b32_e32 v108, v18
	v_mov_b32_e32 v107, v17
	v_mov_b32_e32 v106, v16
	scratch_load_dwordx4 v[16:19], off, off offset:1352 ; 16-byte Folded Reload
	s_waitcnt vmcnt(0)
	v_mov_b32_e32 v118, v18
	v_mov_b32_e32 v117, v17
	;; [unrolled: 1-line block ×3, first 2 shown]
	scratch_load_dwordx4 v[16:19], off, off offset:904 ; 16-byte Folded Reload
	v_fma_f32 v34, v44, v23, v48
	scratch_load_dwordx3 v[22:24], off, off offset:1572 ; 12-byte Folded Reload
	v_fma_f32 v33, v44, v117, v106
	v_fmac_f32_e32 v33, v45, v118
	s_waitcnt vmcnt(1)
	v_fma_f32 v35, v44, v107, v16
	v_fma_f32 v16, v44, v49, v116
	;; [unrolled: 1-line block ×3, first 2 shown]
	scratch_store_dwordx2 off, v[16:17], off offset:836 ; 8-byte Folded Spill
	scratch_load_dwordx4 v[16:19], off, off offset:1584 ; 16-byte Folded Reload
	s_waitcnt vmcnt(2)
	v_fma_f32 v52, v44, v121, v22
	scratch_load_dwordx4 v[104:107], off, off offset:1240 ; 16-byte Folded Reload
	v_fmac_f32_e32 v35, v45, v108
	v_fmac_f32_e32 v52, v45, v122
	scratch_load_dwordx4 v[114:117], off, off offset:1416 ; 16-byte Folded Reload
	s_waitcnt vmcnt(2)
	v_mov_b32_e32 v50, v18
	v_mov_b32_e32 v49, v17
	v_mov_b32_e32 v48, v16
	scratch_load_dwordx4 v[16:19], off, off offset:1600 ; 16-byte Folded Reload
	s_waitcnt vmcnt(0)
	v_mov_b32_e32 v58, v18
	v_mov_b32_e32 v57, v17
	;; [unrolled: 1-line block ×3, first 2 shown]
	scratch_load_dwordx4 v[16:19], off, off offset:920 ; 16-byte Folded Reload
	scratch_load_dwordx3 v[18:20], off, off offset:1040 ; 12-byte Folded Reload
	v_fma_f32 v54, v44, v23, v104
	scratch_load_dwordx3 v[102:104], off, off offset:1508 ; 12-byte Folded Reload
	v_fma_f32 v53, v44, v57, v48
	v_fma_f32 v48, v44, v105, v56
	v_fmac_f32_e32 v53, v45, v58
	v_fmac_f32_e32 v54, v45, v24
	s_waitcnt vmcnt(2)
	v_fma_f32 v55, v44, v49, v16
	s_waitcnt vmcnt(1)
	v_fma_f32 v49, v44, v17, v18
	v_fma_f32 v60, v44, v19, v40
	scratch_load_dwordx4 v[16:19], off, off offset:1192 ; 16-byte Folded Reload
	v_fmac_f32_e32 v55, v45, v50
	v_fmac_f32_e32 v60, v45, v20
	s_waitcnt vmcnt(0)
	v_mov_b32_e32 v82, v18
	v_mov_b32_e32 v81, v17
	;; [unrolled: 1-line block ×3, first 2 shown]
	scratch_load_dwordx4 v[16:19], off, off offset:1216 ; 16-byte Folded Reload
	s_waitcnt vmcnt(0)
	v_mov_b32_e32 v94, v18
	v_mov_b32_e32 v93, v17
	;; [unrolled: 1-line block ×3, first 2 shown]
	scratch_load_dwordx4 v[16:19], off, off offset:936 ; 16-byte Folded Reload
	v_fma_f32 v61, v44, v93, v80
	v_fma_f32 v56, v44, v69, v92
	scratch_load_dwordx4 v[90:93], off, off offset:1176 ; 16-byte Folded Reload
	v_fmac_f32_e32 v61, v45, v94
	s_waitcnt vmcnt(1)
	v_fma_f32 v63, v44, v81, v16
	v_fma_f32 v57, v44, v17, v102
	scratch_load_dwordx3 v[100:102], off, off offset:1440 ; 12-byte Folded Reload
	scratch_load_dwordx4 v[16:19], off, off offset:1468 ; 16-byte Folded Reload
	v_fmac_f32_e32 v63, v45, v82
	v_pk_fma_f32 v[82:83], v[44:45], v[70:71], v[56:57] op_sel:[1,0,0]
	s_waitcnt vmcnt(1)
	v_fma_f32 v64, v44, v103, v100
	s_waitcnt vmcnt(0)
	v_mov_b32_e32 v100, v18
	v_mov_b32_e32 v99, v17
	v_mov_b32_e32 v98, v16
	scratch_load_dwordx4 v[16:19], off, off offset:1484 ; 16-byte Folded Reload
	v_fma_f32 v66, v44, v101, v90
	v_fmac_f32_e32 v64, v45, v104
	v_fmac_f32_e32 v66, v45, v102
	s_waitcnt vmcnt(0)
	v_mov_b32_e32 v38, v18
	v_mov_b32_e32 v37, v17
	;; [unrolled: 1-line block ×3, first 2 shown]
	scratch_load_dwordx4 v[16:19], off, off offset:952 ; 16-byte Folded Reload
	v_fma_f32 v65, v44, v37, v98
	v_fma_f32 v36, v44, v91, v36
	v_fmac_f32_e32 v65, v45, v38
	s_waitcnt vmcnt(0)
	v_fma_f32 v67, v44, v99, v16
	v_fma_f32 v37, v44, v17, v72
	scratch_load_dwordx4 v[16:19], off, off offset:1128 ; 16-byte Folded Reload
	v_fmac_f32_e32 v67, v45, v100
	s_waitcnt vmcnt(0)
	v_mov_b32_e32 v86, v18
	v_mov_b32_e32 v85, v17
	v_mov_b32_e32 v84, v16
	scratch_load_dwordx4 v[16:19], off, off offset:1152 ; 16-byte Folded Reload
	s_waitcnt vmcnt(0)
	v_mov_b32_e32 v90, v18
	v_mov_b32_e32 v89, v17
	;; [unrolled: 1-line block ×3, first 2 shown]
	scratch_load_dwordx4 v[16:19], off, off offset:968 ; 16-byte Folded Reload
	v_fma_f32 v76, v44, v73, v110
	v_fma_f32 v78, v44, v111, v114
	v_pk_fma_f32 v[72:73], v[44:45], v[106:107], v[48:49] op_sel:[1,0,0]
	v_fma_f32 v77, v44, v89, v84
	v_fma_f32 v40, v44, v115, v88
	v_fmac_f32_e32 v77, v45, v90
	v_fmac_f32_e32 v76, v45, v74
	;; [unrolled: 1-line block ×3, first 2 shown]
	s_waitcnt vmcnt(0)
	v_fma_f32 v79, v44, v85, v16
	v_fma_f32 v41, v44, v17, v28
	scratch_load_dwordx3 v[16:18], off, off offset:1324 ; 12-byte Folded Reload
	scratch_load_dwordx4 v[96:99], off, off offset:1336 ; 16-byte Folded Reload
	scratch_load_dwordx4 v[124:127], off, off offset:784 ; 16-byte Folded Reload
	v_pk_fma_f32 v[84:85], v[44:45], v[92:93], v[36:37] op_sel:[1,0,0]
	v_fmac_f32_e32 v79, v45, v86
	v_pk_fma_f32 v[86:87], v[44:45], v[116:117], v[40:41] op_sel:[1,0,0]
	s_waitcnt vmcnt(2)
	v_fma_f32 v80, v44, v29, v16
	s_waitcnt vmcnt(0)
	v_fma_f32 v81, v44, v125, v96
	scratch_load_dwordx4 v[124:127], off, off offset:768 ; 16-byte Folded Reload
	v_fmac_f32_e32 v80, v45, v30
	s_waitcnt vmcnt(0)
	v_fmac_f32_e32 v32, v45, v125
	scratch_load_dwordx3 v[124:126], off, off offset:800 ; 12-byte Folded Reload
	scratch_load_dwordx4 v[108:111], off, off offset:812 ; 16-byte Folded Reload
	scratch_load_dwordx2 v[22:23], off, off offset:836 ; 8-byte Folded Reload
	scratch_load_dwordx4 v[104:107], off, off offset:1112 ; 16-byte Folded Reload
	s_waitcnt vmcnt(3)
	v_fmac_f32_e32 v34, v45, v126
	s_waitcnt vmcnt(1)
	v_pk_fma_f32 v[22:23], v[44:45], v[110:111], v[22:23] op_sel:[1,0,0]
	s_waitcnt vmcnt(0)
	v_fma_f32 v92, v44, v17, v104
	v_fmac_f32_e32 v92, v45, v18
	scratch_load_dwordx4 v[16:19], off, off offset:784 ; 16-byte Folded Reload
	s_waitcnt vmcnt(0)
	v_mov_b32_e32 v30, v18
	v_mov_b32_e32 v29, v17
	;; [unrolled: 1-line block ×3, first 2 shown]
	scratch_load_dwordx4 v[16:19], off, off offset:768 ; 16-byte Folded Reload
	scratch_load_dwordx2 v[16:17], off, off offset:1636 ; 8-byte Folded Reload
	v_fmac_f32_e32 v81, v45, v30
	v_fma_f32 v50, v44, v105, v28
	s_waitcnt vmcnt(1)
	v_pk_fma_f32 v[56:57], v[46:47], v[18:19], v[32:33] op_sel_hi:[0,1,1]
	s_waitcnt vmcnt(0)
	v_pk_fma_f32 v[58:59], v[46:47], v[16:17], v[34:35] op_sel_hi:[0,1,1]
	scratch_load_dwordx2 v[16:17], off, off offset:1272 ; 8-byte Folded Reload
	s_waitcnt vmcnt(0)
	v_pk_fma_f32 v[68:69], v[46:47], v[16:17], v[22:23] op_sel_hi:[0,1,1]
	scratch_load_dwordx2 v[16:17], off, off offset:1616 ; 8-byte Folded Reload
	;; [unrolled: 3-line block ×14, first 2 shown]
	s_waitcnt vmcnt(0)
	v_pk_fma_f32 v[78:79], v[46:47], v[16:17], v[80:81] op_sel_hi:[0,1,1]
	scratch_load_dwordx4 v[16:19], off, off offset:984 ; 16-byte Folded Reload
	scratch_load_dwordx2 v[18:19], off, off offset:1316 ; 8-byte Folded Reload
	s_waitcnt vmcnt(1)
	v_fma_f32 v93, v44, v97, v16
	v_fmac_f32_e32 v93, v45, v98
	s_waitcnt vmcnt(0)
	v_pk_fma_f32 v[80:81], v[46:47], v[18:19], v[92:93] op_sel_hi:[0,1,1]
	scratch_load_dwordx3 v[18:20], off, off offset:1644 ; 12-byte Folded Reload
	scratch_load_dwordx4 v[92:95], off, off offset:1088 ; 16-byte Folded Reload
	s_waitcnt vmcnt(1)
	v_fma_f32 v51, v44, v17, v18
	scratch_load_dwordx2 v[16:17], off, off offset:1104 ; 8-byte Folded Reload
	v_pk_fma_f32 v[50:51], v[44:45], v[106:107], v[50:51] op_sel:[1,0,0]
	s_waitcnt vmcnt(0)
	v_pk_fma_f32 v[82:83], v[46:47], v[16:17], v[50:51] op_sel_hi:[0,1,1]
	scratch_load_dwordx3 v[16:18], off, off offset:1304 ; 12-byte Folded Reload
	s_waitcnt vmcnt(0)
	v_fma_f32 v24, v44, v17, v92
	v_fma_f32 v50, v44, v19, v16
	v_fmac_f32_e32 v24, v45, v18
	scratch_load_dwordx4 v[16:19], off, off offset:844 ; 16-byte Folded Reload
	scratch_load_dwordx4 v[52:55], off, off offset:1016 ; 16-byte Folded Reload
	v_fmac_f32_e32 v50, v45, v20
	s_waitcnt vmcnt(0)
	v_mov_b32_e32 v18, v52
	v_mov_b32_e32 v19, v53
	v_fma_f32 v51, v44, v19, v16
	scratch_load_dwordx2 v[16:17], off, off offset:1296 ; 8-byte Folded Reload
	v_mov_b32_e32 v20, v54
	v_fmac_f32_e32 v51, v45, v20
	s_waitcnt vmcnt(0)
	v_pk_fma_f32 v[84:85], v[46:47], v[16:17], v[50:51] op_sel_hi:[0,1,1]
	scratch_load_dwordx2 v[16:17], off, off offset:1080 ; 8-byte Folded Reload
	scratch_load_dwordx4 v[48:51], off, off offset:1656 ; 16-byte Folded Reload
	s_waitcnt vmcnt(1)
	v_pk_fma_f32 v[86:87], v[46:47], v[16:17], v[24:25] op_sel_hi:[0,1,1]
	scratch_load_dwordx2 v[16:17], off, off offset:1032 ; 8-byte Folded Reload
	v_fma_f32 v24, v44, v93, v18
	s_waitcnt vmcnt(1)
	v_fma_f32 v25, v44, v21, v48
	scratch_load_dwordx4 v[18:21], off, off offset:1452 ; 16-byte Folded Reload
	v_pk_fma_f32 v[24:25], v[44:45], v[94:95], v[24:25] op_sel:[1,0,0]
	s_waitcnt vmcnt(1)
	v_pk_fma_f32 v[92:93], v[46:47], v[16:17], v[24:25] op_sel_hi:[0,1,1]
	scratch_load_dwordx4 v[22:25], off, off offset:1672 ; 16-byte Folded Reload
	s_waitcnt vmcnt(0)
	v_fma_f32 v111, v44, v23, v18
	scratch_load_dwordx3 v[16:18], off, off offset:892 ; 12-byte Folded Reload
	v_fma_f32 v109, v44, v49, v22
	v_fmac_f32_e32 v109, v45, v50
	v_fmac_f32_e32 v109, v46, v51
	;; [unrolled: 1-line block ×4, first 2 shown]
	s_waitcnt vmcnt(0)
	v_fma_f32 v19, v44, v19, v16
	scratch_load_dwordx4 v[50:53], off, off offset:860 ; 16-byte Folded Reload
	scratch_load_dwordx2 v[16:17], off, off offset:1288 ; 8-byte Folded Reload
	v_fmac_f32_e32 v19, v45, v20
	v_fmac_f32_e32 v19, v46, v21
	s_waitcnt vmcnt(0)
	v_pk_fma_f32 v[24:25], v[44:45], v[50:51], v[16:17] op_sel_hi:[0,1,1]
	scratch_load_dwordx2 v[16:17], off, off offset:1064 ; 8-byte Folded Reload
	scratch_load_dwordx4 v[50:53], off, off offset:876 ; 16-byte Folded Reload
	s_waitcnt vmcnt(1)
	v_pk_fma_f32 v[24:25], v[44:45], v[16:17], v[24:25] op_sel:[1,0,0]
	scratch_load_dwordx2 v[16:17], off, off offset:1072 ; 8-byte Folded Reload
	s_waitcnt vmcnt(0)
	v_pk_fma_f32 v[94:95], v[46:47], v[16:17], v[24:25] op_sel_hi:[0,1,1]
	scratch_load_dwordx2 v[16:17], off, off offset:828 ; 8-byte Folded Reload
	v_fma_f32 v24, v44, v51, v39
	v_fmac_f32_e32 v24, v45, v52
	v_fmac_f32_e32 v24, v46, v53
	s_waitcnt vmcnt(0)
	v_lshlrev_b64 v[44:45], 4, v[16:17]
	v_lshl_add_u64 v[44:45], s[22:23], 0, v[44:45]
	global_load_dwordx4 v[44:47], v[44:45], off
	s_waitcnt vmcnt(0)
	v_cmp_gt_f32_e64 s[8:9], 0, v46
	v_cmp_lt_f32_e64 s[2:3], 0, v46
	v_cmp_eq_u32_e64 s[4:5], s36, v44
	v_cmp_eq_u32_e64 s[6:7], s37, v44
	v_cndmask_b32_e64 v25, 1.0, v43, s[8:9]
	v_cndmask_b32_e64 v26, v113, 1.0, s[8:9]
	v_mov_b32_e32 v104, v47
.LBB4_28:                               ;   Parent Loop BB4_27 Depth=1
                                        ; =>  This Inner Loop Header: Depth=2
	global_load_dwordx4 v[48:51], v31, s[30:31] offset:-8
	s_waitcnt vmcnt(0)
	v_ashrrev_i32_e32 v53, 31, v51
	v_mov_b32_e32 v52, v51
	v_lshlrev_b64 v[52:53], 4, v[52:53]
	v_lshl_add_u64 v[52:53], s[22:23], 0, v[52:53]
	global_load_dwordx4 v[52:55], v[52:53], off
	v_pk_add_f32 v[120:121], v[94:95], v[48:49] neg_lo:[0,1] neg_hi:[0,1]
	s_waitcnt vmcnt(0)
	v_add_f32_e32 v108, v45, v53
	v_div_scale_f32 v16, s[0:1], v108, v108, 1.0
	v_rcp_f32_e32 v17, v16
	v_cmp_lt_f32_e64 s[0:1], 0, v54
	s_and_b64 s[0:1], s[0:1], s[8:9]
	v_pk_mul_f32 v[120:121], v[120:121], v[120:121]
	v_fma_f32 v18, -v16, v17, 1.0
	v_fmac_f32_e32 v17, v18, v17
	v_div_scale_f32 v18, vcc, 1.0, v108, 1.0
	v_mul_f32_e32 v20, v18, v17
	v_fma_f32 v21, -v16, v20, v18
	v_fmac_f32_e32 v20, v21, v17
	v_fma_f32 v16, -v16, v20, v18
	v_div_fmas_f32 v16, v16, v17, v20
	v_cmp_eq_u32_e32 vcc, s36, v52
	s_and_b64 vcc, vcc, s[4:5]
	v_cndmask_b32_e64 v17, v46, -v46, s[0:1]
	v_cndmask_b32_e64 v107, 2.0, 4.0, vcc
	v_cndmask_b32_e32 v106, 0.5, v119, vcc
	v_cmp_eq_u32_e32 vcc, s37, v52
	s_or_b64 s[34:35], vcc, s[6:7]
	v_cmp_gt_f32_e32 vcc, 0, v54
	s_and_b64 s[14:15], vcc, s[2:3]
	v_div_fixup_f32 v110, v16, v108, 1.0
	v_cndmask_b32_e32 v47, v26, v25, vcc
	v_div_scale_f32 v18, s[0:1], v47, v47, 1.0
	v_rcp_f32_e32 v20, v18
	v_cndmask_b32_e64 v16, v54, -v54, s[14:15]
	v_cmp_neq_f32_e64 s[10:11], 0, v54
	v_fma_f32 v21, -v18, v20, 1.0
	v_fmac_f32_e32 v20, v21, v20
	v_div_scale_f32 v21, vcc, 1.0, v47, 1.0
	v_mul_f32_e32 v22, v21, v20
	v_fma_f32 v44, -v18, v22, v21
	v_fmac_f32_e32 v22, v44, v20
	v_fma_f32 v18, -v18, v22, v21
	v_div_fmas_f32 v18, v18, v20, v22
	v_sub_f32_e32 v20, v111, v49
	v_div_fixup_f32 v52, v18, v47, 1.0
	v_sub_f32_e32 v18, v109, v48
	v_mul_f32_e32 v20, v20, v20
	v_add_f32_e32 v44, v16, v17
	v_sub_f32_e32 v16, v19, v50
	v_fmac_f32_e32 v20, v18, v18
	v_fmac_f32_e32 v20, v16, v16
	v_cmp_gt_f32_e32 vcc, s41, v20
	v_mul_f32_e32 v16, 0x4f800000, v20
	v_sub_f32_e32 v17, v24, v50
	v_cndmask_b32_e32 v16, v20, v16, vcc
	v_sqrt_f32_e32 v18, v16
	s_nop 0
	v_add_u32_e32 v20, -1, v18
	v_fma_f32 v21, -v20, v18, v16
	v_cmp_ge_f32_e64 s[0:1], 0, v21
	v_add_u32_e32 v21, 1, v18
	s_nop 0
	v_cndmask_b32_e64 v20, v18, v20, s[0:1]
	v_fma_f32 v18, -v21, v18, v16
	v_cmp_lt_f32_e64 s[0:1], 0, v18
	s_nop 1
	v_cndmask_b32_e64 v18, v20, v21, s[0:1]
	v_mul_f32_e32 v20, 0x37800000, v18
	v_cndmask_b32_e32 v18, v18, v20, vcc
	v_cmp_class_f32_e32 vcc, v16, v27
	s_nop 1
	v_cndmask_b32_e32 v16, v18, v16, vcc
	v_sub_f32_e32 v18, v16, v108
	v_cmp_gt_f32_e32 vcc, 0, v18
	v_fma_f32 v16, -v110, v16, 1.0
	v_cmp_lt_f32_e64 s[0:1], v18, v107
	v_cndmask_b32_e32 v20, 0, v123, vcc
	v_fmac_f32_e32 v14, v16, v20
	v_fma_f32 v16, -v106, v18, 1.0
	v_cndmask_b32_e64 v16, v16, 1.0, vcc
	v_cndmask_b32_e64 v20, 0, 1.0, s[0:1]
	v_mul_f32_e32 v53, v20, v16
	v_fma_f32 v16, -v52, v18, 1.0
	v_cndmask_b32_e64 v117, v16, 1.0, vcc
	v_add_f32_e32 v16, v120, v121
	v_fmac_f32_e32 v16, v17, v17
	v_cmp_gt_f32_e32 vcc, s41, v16
	v_mul_f32_e32 v17, 0x4f800000, v16
	v_cmp_lt_f32_e64 s[0:1], v18, v47
	v_cndmask_b32_e32 v16, v16, v17, vcc
	v_sqrt_f32_e32 v17, v16
	s_and_b64 s[0:1], s[10:11], s[0:1]
	v_cndmask_b32_e64 v18, 0, 1.0, s[0:1]
	v_mul_f32_e32 v116, v44, v18
	v_add_u32_e32 v18, -1, v17
	v_fma_f32 v20, -v18, v17, v16
	v_cmp_ge_f32_e64 s[0:1], 0, v20
	v_add_u32_e32 v20, 1, v17
	v_mov_b32_e32 v120, v55
	v_cndmask_b32_e64 v18, v17, v18, s[0:1]
	v_fma_f32 v17, -v20, v17, v16
	v_cmp_lt_f32_e64 s[0:1], 0, v17
	s_nop 1
	v_cndmask_b32_e64 v17, v18, v20, s[0:1]
	v_mul_f32_e32 v18, 0x37800000, v17
	v_cndmask_b32_e32 v17, v17, v18, vcc
	v_cmp_class_f32_e32 vcc, v16, v27
	v_pk_add_f32 v[20:21], v[58:59], v[48:49] op_sel:[0,1] neg_lo:[0,1] neg_hi:[0,1]
	s_nop 0
	v_cndmask_b32_e32 v16, v17, v16, vcc
	v_sub_f32_e32 v118, v16, v108
	v_cmp_gt_f32_e32 vcc, 0, v118
	v_fma_f32 v16, -v110, v16, 1.0
	v_cmp_lt_f32_e64 s[0:1], v118, v107
	v_cndmask_b32_e32 v17, 0, v123, vcc
	v_fmac_f32_e32 v15, v16, v17
	v_fma_f32 v16, -v106, v118, 1.0
	v_cndmask_b32_e64 v121, v16, 1.0, vcc
	v_cndmask_b32_e64 v105, 0, 1.0, s[0:1]
	v_pk_add_f32 v[16:17], v[56:57], v[48:49] op_sel_hi:[1,0] neg_lo:[0,1] neg_hi:[0,1]
	v_pk_mul_f32 v[20:21], v[20:21], v[20:21]
	v_pk_mul_f32 v[54:55], v[104:105], v[120:121]
	v_pk_add_f32 v[120:121], v[68:69], v[50:51] op_sel_hi:[1,0] neg_lo:[0,1] neg_hi:[0,1]
	v_pk_fma_f32 v[16:17], v[16:17], v[16:17], v[20:21]
	s_nop 0
	v_pk_fma_f32 v[16:17], v[120:121], v[120:121], v[16:17]
	s_nop 0
	v_cmp_gt_f32_e64 s[0:1], s41, v17
	v_mul_f32_e32 v18, 0x4f800000, v17
	s_nop 0
	v_cndmask_b32_e64 v17, v17, v18, s[0:1]
	v_sqrt_f32_e32 v18, v17
	s_nop 0
	v_add_u32_e32 v20, -1, v18
	v_fma_f32 v21, -v20, v18, v17
	v_cmp_ge_f32_e64 s[14:15], 0, v21
	v_add_u32_e32 v21, 1, v18
	s_nop 0
	v_cndmask_b32_e64 v20, v18, v20, s[14:15]
	v_fma_f32 v18, -v21, v18, v17
	v_cmp_lt_f32_e64 s[14:15], 0, v18
	s_nop 1
	v_cndmask_b32_e64 v18, v20, v21, s[14:15]
	v_mul_f32_e32 v20, 0x37800000, v18
	v_cndmask_b32_e64 v18, v18, v20, s[0:1]
	v_cmp_class_f32_e64 s[0:1], v17, v27
	s_nop 1
	v_cndmask_b32_e64 v17, v18, v17, s[0:1]
	v_cmp_gt_f32_e64 s[0:1], s41, v16
	v_mul_f32_e32 v18, 0x4f800000, v16
	s_nop 0
	v_cndmask_b32_e64 v16, v16, v18, s[0:1]
	v_sqrt_f32_e32 v18, v16
	s_nop 0
	v_add_u32_e32 v20, -1, v18
	v_fma_f32 v21, -v20, v18, v16
	v_cmp_ge_f32_e64 s[14:15], 0, v21
	v_add_u32_e32 v21, 1, v18
	s_nop 0
	v_cndmask_b32_e64 v20, v18, v20, s[14:15]
	v_fma_f32 v18, -v21, v18, v16
	v_cmp_lt_f32_e64 s[14:15], 0, v18
	s_nop 1
	v_cndmask_b32_e64 v18, v20, v21, s[14:15]
	v_mul_f32_e32 v20, 0x37800000, v18
	v_cndmask_b32_e64 v18, v18, v20, s[0:1]
	v_cmp_class_f32_e64 s[0:1], v16, v27
	s_nop 1
	v_cndmask_b32_e64 v16, v18, v16, s[0:1]
	v_pk_add_f32 v[20:21], v[16:17], v[108:109] op_sel_hi:[1,0] neg_lo:[0,1] neg_hi:[0,1]
	v_pk_fma_f32 v[16:17], v[110:111], v[16:17], 1.0 op_sel_hi:[0,1,0] neg_lo:[1,0,0] neg_hi:[1,0,0]
	v_cmp_gt_f32_e64 s[0:1], 0, v20
	v_cmp_gt_f32_e64 s[14:15], 0, v21
	v_cmp_lt_f32_e64 s[16:17], v20, v107
	v_cndmask_b32_e64 v120, 0, v123, s[0:1]
	v_cndmask_b32_e64 v121, 0, v123, s[14:15]
	v_pk_fma_f32 v[0:1], v[16:17], v[120:121], v[0:1]
	v_pk_fma_f32 v[16:17], v[106:107], v[20:21], 1.0 op_sel_hi:[0,1,0] neg_lo:[1,0,0] neg_hi:[1,0,0]
	v_cmp_lt_f32_e64 s[18:19], v21, v107
	v_cndmask_b32_e64 v17, v17, 1.0, s[14:15]
	v_cndmask_b32_e64 v16, v16, 1.0, s[0:1]
	;; [unrolled: 1-line block ×4, first 2 shown]
	v_pk_mul_f32 v[16:17], v[120:121], v[16:17]
	v_cmp_lt_f32_e64 s[16:17], v21, v47
	v_cmp_lt_f32_e64 s[18:19], v20, v47
	s_and_b64 s[18:19], s[10:11], s[18:19]
	s_and_b64 s[16:17], s[10:11], s[16:17]
	v_pk_mul_f32 v[16:17], v[54:55], v[16:17] op_sel_hi:[0,1]
	v_pk_fma_f32 v[120:121], v[52:53], v[20:21], 1.0 op_sel_hi:[0,1,0] neg_lo:[1,0,0] neg_hi:[1,0,0]
	v_cndmask_b32_e64 v21, 0, 1.0, s[16:17]
	v_cndmask_b32_e64 v20, 0, 1.0, s[18:19]
	v_cndmask_b32_e64 v17, v17, -|v17|, s[34:35]
	v_cndmask_b32_e64 v16, v16, -|v16|, s[34:35]
	v_pk_mul_f32 v[20:21], v[44:45], v[20:21] op_sel_hi:[0,1]
	v_cndmask_b32_e64 v121, v121, 1.0, s[14:15]
	v_cndmask_b32_e64 v120, v120, 1.0, s[0:1]
	v_pk_fma_f32 v[0:1], v[16:17], s[28:29], v[0:1] op_sel_hi:[1,0,1]
	v_pk_add_f32 v[16:17], v[90:91], v[50:51] op_sel_hi:[1,0] neg_lo:[0,1] neg_hi:[0,1]
	v_pk_fma_f32 v[0:1], v[120:121], v[20:21], v[0:1]
	v_pk_add_f32 v[120:121], v[88:89], v[48:49] op_sel:[0,1] neg_lo:[0,1] neg_hi:[0,1]
	v_pk_add_f32 v[20:21], v[70:71], v[48:49] op_sel_hi:[1,0] neg_lo:[0,1] neg_hi:[0,1]
	v_pk_mul_f32 v[120:121], v[120:121], v[120:121]
	s_nop 0
	v_pk_fma_f32 v[20:21], v[20:21], v[20:21], v[120:121]
	s_nop 0
	v_pk_fma_f32 v[16:17], v[16:17], v[16:17], v[20:21]
	s_nop 0
	v_cmp_gt_f32_e64 s[0:1], s41, v17
	v_mul_f32_e32 v18, 0x4f800000, v17
	s_nop 0
	v_cndmask_b32_e64 v17, v17, v18, s[0:1]
	v_sqrt_f32_e32 v18, v17
	s_nop 0
	v_add_u32_e32 v20, -1, v18
	v_fma_f32 v21, -v20, v18, v17
	v_cmp_ge_f32_e64 s[14:15], 0, v21
	v_add_u32_e32 v21, 1, v18
	s_nop 0
	v_cndmask_b32_e64 v20, v18, v20, s[14:15]
	v_fma_f32 v18, -v21, v18, v17
	v_cmp_lt_f32_e64 s[14:15], 0, v18
	s_nop 1
	v_cndmask_b32_e64 v18, v20, v21, s[14:15]
	v_mul_f32_e32 v20, 0x37800000, v18
	v_cndmask_b32_e64 v18, v18, v20, s[0:1]
	v_cmp_class_f32_e64 s[0:1], v17, v27
	s_nop 1
	v_cndmask_b32_e64 v17, v18, v17, s[0:1]
	v_cmp_gt_f32_e64 s[0:1], s41, v16
	v_mul_f32_e32 v18, 0x4f800000, v16
	s_nop 0
	v_cndmask_b32_e64 v16, v16, v18, s[0:1]
	v_sqrt_f32_e32 v18, v16
	s_nop 0
	v_add_u32_e32 v20, -1, v18
	v_fma_f32 v21, -v20, v18, v16
	v_cmp_ge_f32_e64 s[14:15], 0, v21
	v_add_u32_e32 v21, 1, v18
	s_nop 0
	v_cndmask_b32_e64 v20, v18, v20, s[14:15]
	v_fma_f32 v18, -v21, v18, v16
	v_cmp_lt_f32_e64 s[14:15], 0, v18
	s_nop 1
	v_cndmask_b32_e64 v18, v20, v21, s[14:15]
	v_mul_f32_e32 v20, 0x37800000, v18
	v_cndmask_b32_e64 v18, v18, v20, s[0:1]
	v_cmp_class_f32_e64 s[0:1], v16, v27
	s_nop 1
	v_cndmask_b32_e64 v16, v18, v16, s[0:1]
	v_pk_add_f32 v[20:21], v[16:17], v[108:109] op_sel_hi:[1,0] neg_lo:[0,1] neg_hi:[0,1]
	v_pk_fma_f32 v[16:17], v[110:111], v[16:17], 1.0 op_sel_hi:[0,1,0] neg_lo:[1,0,0] neg_hi:[1,0,0]
	v_cmp_gt_f32_e64 s[0:1], 0, v20
	v_cmp_gt_f32_e64 s[14:15], 0, v21
	v_cmp_lt_f32_e64 s[16:17], v20, v107
	v_cndmask_b32_e64 v120, 0, v123, s[0:1]
	v_cndmask_b32_e64 v121, 0, v123, s[14:15]
	v_pk_fma_f32 v[2:3], v[16:17], v[120:121], v[2:3]
	v_pk_fma_f32 v[16:17], v[106:107], v[20:21], 1.0 op_sel_hi:[0,1,0] neg_lo:[1,0,0] neg_hi:[1,0,0]
	v_cmp_lt_f32_e64 s[18:19], v21, v107
	v_cndmask_b32_e64 v17, v17, 1.0, s[14:15]
	v_cndmask_b32_e64 v16, v16, 1.0, s[0:1]
	;; [unrolled: 1-line block ×4, first 2 shown]
	v_pk_mul_f32 v[16:17], v[120:121], v[16:17]
	v_cmp_lt_f32_e64 s[16:17], v21, v47
	v_cmp_lt_f32_e64 s[18:19], v20, v47
	s_and_b64 s[18:19], s[10:11], s[18:19]
	s_and_b64 s[16:17], s[10:11], s[16:17]
	v_pk_mul_f32 v[16:17], v[54:55], v[16:17] op_sel_hi:[0,1]
	v_pk_fma_f32 v[120:121], v[52:53], v[20:21], 1.0 op_sel_hi:[0,1,0] neg_lo:[1,0,0] neg_hi:[1,0,0]
	v_cndmask_b32_e64 v21, 0, 1.0, s[16:17]
	v_cndmask_b32_e64 v20, 0, 1.0, s[18:19]
	v_cndmask_b32_e64 v17, v17, -|v17|, s[34:35]
	v_cndmask_b32_e64 v16, v16, -|v16|, s[34:35]
	v_pk_mul_f32 v[20:21], v[44:45], v[20:21] op_sel_hi:[0,1]
	v_cndmask_b32_e64 v121, v121, 1.0, s[14:15]
	v_cndmask_b32_e64 v120, v120, 1.0, s[0:1]
	v_pk_fma_f32 v[2:3], v[16:17], s[28:29], v[2:3] op_sel_hi:[1,0,1]
	v_pk_add_f32 v[16:17], v[60:61], v[50:51] op_sel_hi:[1,0] neg_lo:[0,1] neg_hi:[0,1]
	v_pk_fma_f32 v[2:3], v[120:121], v[20:21], v[2:3]
	v_pk_add_f32 v[120:121], v[74:75], v[48:49] op_sel:[0,1] neg_lo:[0,1] neg_hi:[0,1]
	v_pk_add_f32 v[20:21], v[72:73], v[48:49] op_sel_hi:[1,0] neg_lo:[0,1] neg_hi:[0,1]
	v_pk_mul_f32 v[120:121], v[120:121], v[120:121]
	s_nop 0
	v_pk_fma_f32 v[20:21], v[20:21], v[20:21], v[120:121]
	s_nop 0
	v_pk_fma_f32 v[16:17], v[16:17], v[16:17], v[20:21]
	s_nop 0
	v_cmp_gt_f32_e64 s[0:1], s41, v17
	v_mul_f32_e32 v18, 0x4f800000, v17
	s_nop 0
	v_cndmask_b32_e64 v17, v17, v18, s[0:1]
	v_sqrt_f32_e32 v18, v17
	s_nop 0
	v_add_u32_e32 v20, -1, v18
	v_fma_f32 v21, -v20, v18, v17
	v_cmp_ge_f32_e64 s[14:15], 0, v21
	v_add_u32_e32 v21, 1, v18
	s_nop 0
	v_cndmask_b32_e64 v20, v18, v20, s[14:15]
	v_fma_f32 v18, -v21, v18, v17
	v_cmp_lt_f32_e64 s[14:15], 0, v18
	s_nop 1
	v_cndmask_b32_e64 v18, v20, v21, s[14:15]
	v_mul_f32_e32 v20, 0x37800000, v18
	v_cndmask_b32_e64 v18, v18, v20, s[0:1]
	v_cmp_class_f32_e64 s[0:1], v17, v27
	s_nop 1
	v_cndmask_b32_e64 v17, v18, v17, s[0:1]
	v_cmp_gt_f32_e64 s[0:1], s41, v16
	v_mul_f32_e32 v18, 0x4f800000, v16
	s_nop 0
	v_cndmask_b32_e64 v16, v16, v18, s[0:1]
	v_sqrt_f32_e32 v18, v16
	s_nop 0
	v_add_u32_e32 v20, -1, v18
	v_fma_f32 v21, -v20, v18, v16
	v_cmp_ge_f32_e64 s[14:15], 0, v21
	v_add_u32_e32 v21, 1, v18
	s_nop 0
	v_cndmask_b32_e64 v20, v18, v20, s[14:15]
	v_fma_f32 v18, -v21, v18, v16
	v_cmp_lt_f32_e64 s[14:15], 0, v18
	s_nop 1
	v_cndmask_b32_e64 v18, v20, v21, s[14:15]
	v_mul_f32_e32 v20, 0x37800000, v18
	v_cndmask_b32_e64 v18, v18, v20, s[0:1]
	v_cmp_class_f32_e64 s[0:1], v16, v27
	s_nop 1
	v_cndmask_b32_e64 v16, v18, v16, s[0:1]
	v_pk_add_f32 v[20:21], v[16:17], v[108:109] op_sel_hi:[1,0] neg_lo:[0,1] neg_hi:[0,1]
	v_pk_fma_f32 v[16:17], v[110:111], v[16:17], 1.0 op_sel_hi:[0,1,0] neg_lo:[1,0,0] neg_hi:[1,0,0]
	v_cmp_gt_f32_e64 s[0:1], 0, v20
	v_cmp_gt_f32_e64 s[14:15], 0, v21
	v_cmp_lt_f32_e64 s[16:17], v20, v107
	v_cndmask_b32_e64 v120, 0, v123, s[0:1]
	v_cndmask_b32_e64 v121, 0, v123, s[14:15]
	v_pk_fma_f32 v[4:5], v[16:17], v[120:121], v[4:5]
	v_pk_fma_f32 v[16:17], v[106:107], v[20:21], 1.0 op_sel_hi:[0,1,0] neg_lo:[1,0,0] neg_hi:[1,0,0]
	v_cmp_lt_f32_e64 s[18:19], v21, v107
	v_cndmask_b32_e64 v17, v17, 1.0, s[14:15]
	v_cndmask_b32_e64 v16, v16, 1.0, s[0:1]
	;; [unrolled: 1-line block ×4, first 2 shown]
	v_pk_mul_f32 v[16:17], v[120:121], v[16:17]
	v_cmp_lt_f32_e64 s[16:17], v21, v47
	v_cmp_lt_f32_e64 s[18:19], v20, v47
	s_and_b64 s[18:19], s[10:11], s[18:19]
	s_and_b64 s[16:17], s[10:11], s[16:17]
	v_pk_mul_f32 v[16:17], v[54:55], v[16:17] op_sel_hi:[0,1]
	v_pk_fma_f32 v[120:121], v[52:53], v[20:21], 1.0 op_sel_hi:[0,1,0] neg_lo:[1,0,0] neg_hi:[1,0,0]
	v_cndmask_b32_e64 v21, 0, 1.0, s[16:17]
	v_cndmask_b32_e64 v20, 0, 1.0, s[18:19]
	v_cndmask_b32_e64 v17, v17, -|v17|, s[34:35]
	v_cndmask_b32_e64 v16, v16, -|v16|, s[34:35]
	v_pk_mul_f32 v[20:21], v[44:45], v[20:21] op_sel_hi:[0,1]
	v_cndmask_b32_e64 v121, v121, 1.0, s[14:15]
	v_cndmask_b32_e64 v120, v120, 1.0, s[0:1]
	v_pk_fma_f32 v[4:5], v[16:17], s[28:29], v[4:5] op_sel_hi:[1,0,1]
	v_pk_add_f32 v[16:17], v[66:67], v[50:51] op_sel_hi:[1,0] neg_lo:[0,1] neg_hi:[0,1]
	v_pk_fma_f32 v[4:5], v[120:121], v[20:21], v[4:5]
	v_pk_add_f32 v[120:121], v[64:65], v[48:49] op_sel:[0,1] neg_lo:[0,1] neg_hi:[0,1]
	v_pk_add_f32 v[20:21], v[62:63], v[48:49] op_sel_hi:[1,0] neg_lo:[0,1] neg_hi:[0,1]
	v_pk_mul_f32 v[120:121], v[120:121], v[120:121]
	s_nop 0
	v_pk_fma_f32 v[20:21], v[20:21], v[20:21], v[120:121]
	s_nop 0
	v_pk_fma_f32 v[16:17], v[16:17], v[16:17], v[20:21]
	s_nop 0
	v_cmp_gt_f32_e64 s[0:1], s41, v17
	v_mul_f32_e32 v18, 0x4f800000, v17
	s_nop 0
	v_cndmask_b32_e64 v17, v17, v18, s[0:1]
	v_sqrt_f32_e32 v18, v17
	s_nop 0
	v_add_u32_e32 v20, -1, v18
	v_fma_f32 v21, -v20, v18, v17
	v_cmp_ge_f32_e64 s[14:15], 0, v21
	v_add_u32_e32 v21, 1, v18
	s_nop 0
	v_cndmask_b32_e64 v20, v18, v20, s[14:15]
	v_fma_f32 v18, -v21, v18, v17
	v_cmp_lt_f32_e64 s[14:15], 0, v18
	s_nop 1
	v_cndmask_b32_e64 v18, v20, v21, s[14:15]
	v_mul_f32_e32 v20, 0x37800000, v18
	v_cndmask_b32_e64 v18, v18, v20, s[0:1]
	v_cmp_class_f32_e64 s[0:1], v17, v27
	s_nop 1
	v_cndmask_b32_e64 v17, v18, v17, s[0:1]
	v_cmp_gt_f32_e64 s[0:1], s41, v16
	v_mul_f32_e32 v18, 0x4f800000, v16
	s_nop 0
	v_cndmask_b32_e64 v16, v16, v18, s[0:1]
	v_sqrt_f32_e32 v18, v16
	s_nop 0
	v_add_u32_e32 v20, -1, v18
	v_fma_f32 v21, -v20, v18, v16
	v_cmp_ge_f32_e64 s[14:15], 0, v21
	v_add_u32_e32 v21, 1, v18
	s_nop 0
	v_cndmask_b32_e64 v20, v18, v20, s[14:15]
	v_fma_f32 v18, -v21, v18, v16
	v_cmp_lt_f32_e64 s[14:15], 0, v18
	s_nop 1
	v_cndmask_b32_e64 v18, v20, v21, s[14:15]
	v_mul_f32_e32 v20, 0x37800000, v18
	v_cndmask_b32_e64 v18, v18, v20, s[0:1]
	v_cmp_class_f32_e64 s[0:1], v16, v27
	s_nop 1
	v_cndmask_b32_e64 v16, v18, v16, s[0:1]
	v_pk_add_f32 v[20:21], v[16:17], v[108:109] op_sel_hi:[1,0] neg_lo:[0,1] neg_hi:[0,1]
	v_pk_fma_f32 v[16:17], v[110:111], v[16:17], 1.0 op_sel_hi:[0,1,0] neg_lo:[1,0,0] neg_hi:[1,0,0]
	v_cmp_gt_f32_e64 s[0:1], 0, v20
	v_cmp_gt_f32_e64 s[14:15], 0, v21
	v_cmp_lt_f32_e64 s[16:17], v20, v107
	v_cndmask_b32_e64 v120, 0, v123, s[0:1]
	v_cndmask_b32_e64 v121, 0, v123, s[14:15]
	v_pk_fma_f32 v[6:7], v[16:17], v[120:121], v[6:7]
	v_pk_fma_f32 v[16:17], v[106:107], v[20:21], 1.0 op_sel_hi:[0,1,0] neg_lo:[1,0,0] neg_hi:[1,0,0]
	v_cmp_lt_f32_e64 s[18:19], v21, v107
	v_cndmask_b32_e64 v17, v17, 1.0, s[14:15]
	v_cndmask_b32_e64 v16, v16, 1.0, s[0:1]
	;; [unrolled: 1-line block ×4, first 2 shown]
	v_pk_mul_f32 v[16:17], v[120:121], v[16:17]
	v_cmp_lt_f32_e64 s[16:17], v21, v47
	v_cmp_lt_f32_e64 s[18:19], v20, v47
	s_and_b64 s[18:19], s[10:11], s[18:19]
	s_and_b64 s[16:17], s[10:11], s[16:17]
	v_pk_mul_f32 v[16:17], v[54:55], v[16:17] op_sel_hi:[0,1]
	v_pk_fma_f32 v[120:121], v[52:53], v[20:21], 1.0 op_sel_hi:[0,1,0] neg_lo:[1,0,0] neg_hi:[1,0,0]
	v_cndmask_b32_e64 v21, 0, 1.0, s[16:17]
	v_cndmask_b32_e64 v20, 0, 1.0, s[18:19]
	v_cndmask_b32_e64 v17, v17, -|v17|, s[34:35]
	v_cndmask_b32_e64 v16, v16, -|v16|, s[34:35]
	v_pk_mul_f32 v[20:21], v[44:45], v[20:21] op_sel_hi:[0,1]
	v_cndmask_b32_e64 v121, v121, 1.0, s[14:15]
	v_cndmask_b32_e64 v120, v120, 1.0, s[0:1]
	v_pk_fma_f32 v[6:7], v[16:17], s[28:29], v[6:7] op_sel_hi:[1,0,1]
	v_pk_add_f32 v[16:17], v[76:77], v[50:51] op_sel_hi:[1,0] neg_lo:[0,1] neg_hi:[0,1]
	v_pk_fma_f32 v[6:7], v[120:121], v[20:21], v[6:7]
	v_pk_add_f32 v[120:121], v[34:35], v[48:49] op_sel:[0,1] neg_lo:[0,1] neg_hi:[0,1]
	v_pk_add_f32 v[20:21], v[32:33], v[48:49] op_sel_hi:[1,0] neg_lo:[0,1] neg_hi:[0,1]
	v_pk_mul_f32 v[120:121], v[120:121], v[120:121]
	s_nop 0
	v_pk_fma_f32 v[20:21], v[20:21], v[20:21], v[120:121]
	s_nop 0
	v_pk_fma_f32 v[16:17], v[16:17], v[16:17], v[20:21]
	s_nop 0
	v_cmp_gt_f32_e64 s[0:1], s41, v17
	v_mul_f32_e32 v18, 0x4f800000, v17
	s_nop 0
	v_cndmask_b32_e64 v17, v17, v18, s[0:1]
	v_sqrt_f32_e32 v18, v17
	s_nop 0
	v_add_u32_e32 v20, -1, v18
	v_fma_f32 v21, -v20, v18, v17
	v_cmp_ge_f32_e64 s[14:15], 0, v21
	v_add_u32_e32 v21, 1, v18
	s_nop 0
	v_cndmask_b32_e64 v20, v18, v20, s[14:15]
	v_fma_f32 v18, -v21, v18, v17
	v_cmp_lt_f32_e64 s[14:15], 0, v18
	s_nop 1
	v_cndmask_b32_e64 v18, v20, v21, s[14:15]
	v_mul_f32_e32 v20, 0x37800000, v18
	v_cndmask_b32_e64 v18, v18, v20, s[0:1]
	v_cmp_class_f32_e64 s[0:1], v17, v27
	s_nop 1
	v_cndmask_b32_e64 v17, v18, v17, s[0:1]
	v_cmp_gt_f32_e64 s[0:1], s41, v16
	v_mul_f32_e32 v18, 0x4f800000, v16
	s_nop 0
	v_cndmask_b32_e64 v16, v16, v18, s[0:1]
	v_sqrt_f32_e32 v18, v16
	s_nop 0
	v_add_u32_e32 v20, -1, v18
	v_fma_f32 v21, -v20, v18, v16
	v_cmp_ge_f32_e64 s[14:15], 0, v21
	v_add_u32_e32 v21, 1, v18
	s_nop 0
	v_cndmask_b32_e64 v20, v18, v20, s[14:15]
	v_fma_f32 v18, -v21, v18, v16
	v_cmp_lt_f32_e64 s[14:15], 0, v18
	s_nop 1
	v_cndmask_b32_e64 v18, v20, v21, s[14:15]
	v_mul_f32_e32 v20, 0x37800000, v18
	v_cndmask_b32_e64 v18, v18, v20, s[0:1]
	v_cmp_class_f32_e64 s[0:1], v16, v27
	s_nop 1
	v_cndmask_b32_e64 v16, v18, v16, s[0:1]
	v_pk_add_f32 v[20:21], v[16:17], v[108:109] op_sel_hi:[1,0] neg_lo:[0,1] neg_hi:[0,1]
	v_pk_fma_f32 v[16:17], v[110:111], v[16:17], 1.0 op_sel_hi:[0,1,0] neg_lo:[1,0,0] neg_hi:[1,0,0]
	v_cmp_gt_f32_e64 s[0:1], 0, v20
	v_cmp_gt_f32_e64 s[14:15], 0, v21
	v_cmp_lt_f32_e64 s[16:17], v20, v107
	v_cndmask_b32_e64 v120, 0, v123, s[0:1]
	v_cndmask_b32_e64 v121, 0, v123, s[14:15]
	v_pk_fma_f32 v[8:9], v[16:17], v[120:121], v[8:9]
	v_pk_fma_f32 v[16:17], v[106:107], v[20:21], 1.0 op_sel_hi:[0,1,0] neg_lo:[1,0,0] neg_hi:[1,0,0]
	v_cmp_lt_f32_e64 s[18:19], v21, v107
	v_cndmask_b32_e64 v17, v17, 1.0, s[14:15]
	v_cndmask_b32_e64 v16, v16, 1.0, s[0:1]
	;; [unrolled: 1-line block ×4, first 2 shown]
	v_pk_mul_f32 v[16:17], v[120:121], v[16:17]
	v_cmp_lt_f32_e64 s[16:17], v21, v47
	v_cmp_lt_f32_e64 s[18:19], v20, v47
	s_and_b64 s[18:19], s[10:11], s[18:19]
	s_and_b64 s[16:17], s[10:11], s[16:17]
	v_pk_mul_f32 v[16:17], v[54:55], v[16:17] op_sel_hi:[0,1]
	v_pk_fma_f32 v[120:121], v[52:53], v[20:21], 1.0 op_sel_hi:[0,1,0] neg_lo:[1,0,0] neg_hi:[1,0,0]
	v_cndmask_b32_e64 v21, 0, 1.0, s[16:17]
	v_cndmask_b32_e64 v20, 0, 1.0, s[18:19]
	v_cndmask_b32_e64 v17, v17, -|v17|, s[34:35]
	v_cndmask_b32_e64 v16, v16, -|v16|, s[34:35]
	v_pk_mul_f32 v[20:21], v[44:45], v[20:21] op_sel_hi:[0,1]
	v_cndmask_b32_e64 v121, v121, 1.0, s[14:15]
	v_cndmask_b32_e64 v120, v120, 1.0, s[0:1]
	v_pk_fma_f32 v[8:9], v[16:17], s[28:29], v[8:9] op_sel_hi:[1,0,1]
	v_pk_add_f32 v[16:17], v[82:83], v[50:51] op_sel_hi:[1,0] neg_lo:[0,1] neg_hi:[0,1]
	v_pk_fma_f32 v[8:9], v[120:121], v[20:21], v[8:9]
	v_pk_add_f32 v[120:121], v[80:81], v[48:49] op_sel:[0,1] neg_lo:[0,1] neg_hi:[0,1]
	v_pk_add_f32 v[20:21], v[78:79], v[48:49] op_sel_hi:[1,0] neg_lo:[0,1] neg_hi:[0,1]
	v_pk_mul_f32 v[120:121], v[120:121], v[120:121]
	s_nop 0
	v_pk_fma_f32 v[20:21], v[20:21], v[20:21], v[120:121]
	s_nop 0
	v_pk_fma_f32 v[16:17], v[16:17], v[16:17], v[20:21]
	s_nop 0
	v_cmp_gt_f32_e64 s[0:1], s41, v17
	v_mul_f32_e32 v18, 0x4f800000, v17
	s_nop 0
	v_cndmask_b32_e64 v17, v17, v18, s[0:1]
	v_sqrt_f32_e32 v18, v17
	s_nop 0
	v_add_u32_e32 v20, -1, v18
	v_fma_f32 v21, -v20, v18, v17
	v_cmp_ge_f32_e64 s[14:15], 0, v21
	v_add_u32_e32 v21, 1, v18
	s_nop 0
	v_cndmask_b32_e64 v20, v18, v20, s[14:15]
	v_fma_f32 v18, -v21, v18, v17
	v_cmp_lt_f32_e64 s[14:15], 0, v18
	s_nop 1
	v_cndmask_b32_e64 v18, v20, v21, s[14:15]
	v_mul_f32_e32 v20, 0x37800000, v18
	v_cndmask_b32_e64 v18, v18, v20, s[0:1]
	v_cmp_class_f32_e64 s[0:1], v17, v27
	s_nop 1
	v_cndmask_b32_e64 v17, v18, v17, s[0:1]
	v_cmp_gt_f32_e64 s[0:1], s41, v16
	v_mul_f32_e32 v18, 0x4f800000, v16
	s_nop 0
	v_cndmask_b32_e64 v16, v16, v18, s[0:1]
	v_sqrt_f32_e32 v18, v16
	s_nop 0
	v_add_u32_e32 v20, -1, v18
	v_fma_f32 v21, -v20, v18, v16
	v_cmp_ge_f32_e64 s[14:15], 0, v21
	v_add_u32_e32 v21, 1, v18
	s_nop 0
	v_cndmask_b32_e64 v20, v18, v20, s[14:15]
	v_fma_f32 v18, -v21, v18, v16
	v_cmp_lt_f32_e64 s[14:15], 0, v18
	s_nop 1
	v_cndmask_b32_e64 v18, v20, v21, s[14:15]
	v_mul_f32_e32 v20, 0x37800000, v18
	v_cndmask_b32_e64 v18, v18, v20, s[0:1]
	v_cmp_class_f32_e64 s[0:1], v16, v27
	s_nop 1
	v_cndmask_b32_e64 v16, v18, v16, s[0:1]
	v_pk_add_f32 v[20:21], v[16:17], v[108:109] op_sel_hi:[1,0] neg_lo:[0,1] neg_hi:[0,1]
	v_pk_fma_f32 v[16:17], v[110:111], v[16:17], 1.0 op_sel_hi:[0,1,0] neg_lo:[1,0,0] neg_hi:[1,0,0]
	v_cmp_gt_f32_e64 s[0:1], 0, v20
	v_cmp_gt_f32_e64 s[14:15], 0, v21
	v_cmp_lt_f32_e64 s[16:17], v20, v107
	v_cndmask_b32_e64 v120, 0, v123, s[0:1]
	v_cndmask_b32_e64 v121, 0, v123, s[14:15]
	v_pk_fma_f32 v[10:11], v[16:17], v[120:121], v[10:11]
	v_pk_fma_f32 v[16:17], v[106:107], v[20:21], 1.0 op_sel_hi:[0,1,0] neg_lo:[1,0,0] neg_hi:[1,0,0]
	v_cmp_lt_f32_e64 s[18:19], v21, v107
	v_cndmask_b32_e64 v17, v17, 1.0, s[14:15]
	v_cndmask_b32_e64 v16, v16, 1.0, s[0:1]
	;; [unrolled: 1-line block ×4, first 2 shown]
	v_pk_mul_f32 v[16:17], v[120:121], v[16:17]
	v_cmp_lt_f32_e64 s[16:17], v21, v47
	v_cmp_lt_f32_e64 s[18:19], v20, v47
	s_and_b64 s[18:19], s[10:11], s[18:19]
	s_and_b64 s[16:17], s[10:11], s[16:17]
	v_pk_mul_f32 v[16:17], v[54:55], v[16:17] op_sel_hi:[0,1]
	v_pk_fma_f32 v[120:121], v[52:53], v[20:21], 1.0 op_sel_hi:[0,1,0] neg_lo:[1,0,0] neg_hi:[1,0,0]
	v_cndmask_b32_e64 v21, 0, 1.0, s[16:17]
	v_cndmask_b32_e64 v20, 0, 1.0, s[18:19]
	v_cndmask_b32_e64 v17, v17, -|v17|, s[34:35]
	v_cndmask_b32_e64 v16, v16, -|v16|, s[34:35]
	v_pk_mul_f32 v[20:21], v[44:45], v[20:21] op_sel_hi:[0,1]
	v_cndmask_b32_e64 v121, v121, 1.0, s[14:15]
	v_cndmask_b32_e64 v120, v120, 1.0, s[0:1]
	v_pk_fma_f32 v[10:11], v[16:17], s[28:29], v[10:11] op_sel_hi:[1,0,1]
	v_pk_add_f32 v[16:17], v[92:93], v[50:51] op_sel_hi:[1,0] neg_lo:[0,1] neg_hi:[0,1]
	v_pk_fma_f32 v[10:11], v[120:121], v[20:21], v[10:11]
	v_pk_add_f32 v[20:21], v[84:85], v[48:49] op_sel_hi:[1,0] neg_lo:[0,1] neg_hi:[0,1]
	v_pk_add_f32 v[48:49], v[86:87], v[48:49] op_sel:[0,1] neg_lo:[0,1] neg_hi:[0,1]
	s_nop 0
	v_pk_mul_f32 v[48:49], v[48:49], v[48:49]
	s_nop 0
	v_pk_fma_f32 v[20:21], v[20:21], v[20:21], v[48:49]
	s_nop 0
	v_pk_fma_f32 v[48:49], v[16:17], v[16:17], v[20:21]
	s_nop 0
	v_cmp_gt_f32_e64 s[0:1], s41, v49
	v_mul_f32_e32 v16, 0x4f800000, v49
	s_nop 0
	v_cndmask_b32_e64 v16, v49, v16, s[0:1]
	v_sqrt_f32_e32 v17, v16
	s_nop 0
	v_add_u32_e32 v18, -1, v17
	v_fma_f32 v20, -v18, v17, v16
	v_cmp_ge_f32_e64 s[14:15], 0, v20
	v_add_u32_e32 v20, 1, v17
	s_nop 0
	v_cndmask_b32_e64 v18, v17, v18, s[14:15]
	v_fma_f32 v17, -v20, v17, v16
	v_cmp_lt_f32_e64 s[14:15], 0, v17
	s_nop 1
	v_cndmask_b32_e64 v17, v18, v20, s[14:15]
	v_mul_f32_e32 v18, 0x37800000, v17
	v_cndmask_b32_e64 v17, v17, v18, s[0:1]
	v_cmp_class_f32_e64 s[0:1], v16, v27
	s_nop 1
	v_cndmask_b32_e64 v49, v17, v16, s[0:1]
	v_cmp_gt_f32_e64 s[0:1], s41, v48
	v_mul_f32_e32 v16, 0x4f800000, v48
	s_nop 0
	v_cndmask_b32_e64 v48, v48, v16, s[0:1]
	v_sqrt_f32_e32 v16, v48
	s_nop 0
	v_add_u32_e32 v17, -1, v16
	v_fma_f32 v18, -v17, v16, v48
	v_cmp_ge_f32_e64 s[14:15], 0, v18
	v_add_u32_e32 v18, 1, v16
	s_nop 0
	v_cndmask_b32_e64 v17, v16, v17, s[14:15]
	v_fma_f32 v16, -v18, v16, v48
	v_cmp_lt_f32_e64 s[14:15], 0, v16
	s_nop 1
	v_cndmask_b32_e64 v16, v17, v18, s[14:15]
	v_mul_f32_e32 v17, 0x37800000, v16
	v_cndmask_b32_e64 v16, v16, v17, s[0:1]
	v_cmp_class_f32_e64 s[0:1], v48, v27
	s_nop 1
	v_cndmask_b32_e64 v48, v16, v48, s[0:1]
	v_pk_add_f32 v[50:51], v[48:49], v[108:109] op_sel_hi:[1,0] neg_lo:[0,1] neg_hi:[0,1]
	v_pk_fma_f32 v[16:17], v[110:111], v[48:49], 1.0 op_sel_hi:[0,1,0] neg_lo:[1,0,0] neg_hi:[1,0,0]
	v_cmp_gt_f32_e64 s[0:1], 0, v50
	v_cmp_gt_f32_e64 s[14:15], 0, v51
	v_cmp_lt_f32_e64 s[16:17], v50, v107
	v_cndmask_b32_e64 v20, 0, v123, s[0:1]
	v_cndmask_b32_e64 v21, 0, v123, s[14:15]
	v_pk_fma_f32 v[12:13], v[16:17], v[20:21], v[12:13]
	v_pk_fma_f32 v[16:17], v[106:107], v[50:51], 1.0 op_sel_hi:[0,1,0] neg_lo:[1,0,0] neg_hi:[1,0,0]
	v_cmp_lt_f32_e64 s[18:19], v51, v107
	v_cndmask_b32_e64 v17, v17, 1.0, s[14:15]
	v_cndmask_b32_e64 v16, v16, 1.0, s[0:1]
	;; [unrolled: 1-line block ×4, first 2 shown]
	v_pk_mul_f32 v[48:49], v[20:21], v[16:17]
	v_cmp_lt_f32_e64 s[16:17], v51, v47
	v_cmp_lt_f32_e64 s[18:19], v50, v47
	s_and_b64 s[18:19], s[10:11], s[18:19]
	s_and_b64 s[16:17], s[10:11], s[16:17]
	v_pk_mul_f32 v[48:49], v[54:55], v[48:49] op_sel_hi:[0,1]
	v_pk_fma_f32 v[106:107], v[52:53], v[50:51], 1.0 op_sel_hi:[0,1,0] neg_lo:[1,0,0] neg_hi:[1,0,0]
	v_cndmask_b32_e64 v17, 0, 1.0, s[16:17]
	v_cndmask_b32_e64 v16, 0, 1.0, s[18:19]
	v_cndmask_b32_e64 v49, v49, -|v49|, s[34:35]
	v_cndmask_b32_e64 v48, v48, -|v48|, s[34:35]
	v_pk_mul_f32 v[16:17], v[44:45], v[16:17] op_sel_hi:[0,1]
	v_cndmask_b32_e64 v21, v107, 1.0, s[14:15]
	v_cndmask_b32_e64 v20, v106, 1.0, s[0:1]
	v_pk_fma_f32 v[12:13], v[48:49], s[28:29], v[12:13] op_sel_hi:[1,0,1]
	v_cmp_lt_f32_e64 s[0:1], v118, v47
	v_pk_fma_f32 v[12:13], v[20:21], v[16:17], v[12:13]
	v_mul_f32_e32 v16, v54, v53
	v_cndmask_b32_e64 v16, v16, -|v16|, s[34:35]
	v_fmac_f32_e32 v14, 0x42340000, v16
	v_mul_f32_e32 v16, v54, v55
	v_cndmask_b32_e64 v16, v16, -|v16|, s[34:35]
	s_and_b64 s[0:1], s[10:11], s[0:1]
	v_fmac_f32_e32 v15, 0x42340000, v16
	v_fma_f32 v16, -v52, v118, 1.0
	v_cndmask_b32_e64 v17, 0, 1.0, s[0:1]
	s_add_u32 s30, s30, 16
	v_mul_f32_e32 v17, v44, v17
	v_cndmask_b32_e64 v16, v16, 1.0, vcc
	s_addc_u32 s31, s31, 0
	s_add_i32 s42, s42, -1
	v_fmac_f32_e32 v14, v117, v116
	v_fmac_f32_e32 v15, v16, v17
	s_cmp_lg_u32 s42, 0
	s_cbranch_scc1 .LBB4_28
; %bb.29:                               ;   in Loop: Header=BB4_27 Depth=1
	s_add_i32 s26, s26, 1
	s_cmp_lg_u32 s26, s40
	s_cbranch_scc1 .LBB4_27
; %bb.30:
	s_and_saveexec_b64 s[0:1], s[12:13]
	s_cbranch_execz .LBB4_32
; %bb.31:
	scratch_load_dwordx2 v[16:17], off, off offset:1688 ; 8-byte Folded Reload
	v_mov_b32_e32 v19, 0
	v_mul_f32_e32 v0, 0.5, v0
	v_mul_f32_e32 v2, 0.5, v2
	s_waitcnt vmcnt(0)
	v_mov_b32_e32 v18, v16
	v_lshl_add_u64 v[16:17], v[18:19], 2, s[20:21]
	v_add_u32_e32 v18, s29, v18
	global_store_dword v[16:17], v0, off
	v_mul_f32_e32 v16, 0.5, v1
	v_lshl_add_u64 v[0:1], v[18:19], 2, s[20:21]
	v_add_u32_e32 v18, s29, v18
	global_store_dword v[0:1], v16, off
	v_lshl_add_u64 v[0:1], v[18:19], 2, s[20:21]
	v_add_u32_e32 v18, s29, v18
	global_store_dword v[0:1], v2, off
	v_mul_f32_e32 v2, 0.5, v3
	v_lshl_add_u64 v[0:1], v[18:19], 2, s[20:21]
	v_add_u32_e32 v18, s29, v18
	global_store_dword v[0:1], v2, off
	v_mul_f32_e32 v2, 0.5, v4
	;; [unrolled: 4-line block ×13, first 2 shown]
	v_lshl_add_u64 v[0:1], v[18:19], 2, s[20:21]
	global_store_dword v[0:1], v2, off
.LBB4_32:
	s_endpgm
	.section	.rodata,"a",@progbits
	.p2align	6, 0x0
	.amdhsa_kernel _ZL11fasten_mainILm16EEviiPK4AtomS2_PKfS4_S4_S4_S4_S4_PfPK8FFParamsi
		.amdhsa_group_segment_fixed_size 0
		.amdhsa_private_segment_fixed_size 1712
		.amdhsa_kernarg_size 352
		.amdhsa_user_sgpr_count 2
		.amdhsa_user_sgpr_dispatch_ptr 0
		.amdhsa_user_sgpr_queue_ptr 0
		.amdhsa_user_sgpr_kernarg_segment_ptr 1
		.amdhsa_user_sgpr_dispatch_id 0
		.amdhsa_user_sgpr_kernarg_preload_length 0
		.amdhsa_user_sgpr_kernarg_preload_offset 0
		.amdhsa_user_sgpr_private_segment_size 0
		.amdhsa_uses_dynamic_stack 0
		.amdhsa_enable_private_segment 1
		.amdhsa_system_sgpr_workgroup_id_x 1
		.amdhsa_system_sgpr_workgroup_id_y 0
		.amdhsa_system_sgpr_workgroup_id_z 0
		.amdhsa_system_sgpr_workgroup_info 0
		.amdhsa_system_vgpr_workitem_id 0
		.amdhsa_next_free_vgpr 128
		.amdhsa_next_free_sgpr 52
		.amdhsa_accum_offset 128
		.amdhsa_reserve_vcc 1
		.amdhsa_float_round_mode_32 0
		.amdhsa_float_round_mode_16_64 0
		.amdhsa_float_denorm_mode_32 3
		.amdhsa_float_denorm_mode_16_64 3
		.amdhsa_dx10_clamp 1
		.amdhsa_ieee_mode 1
		.amdhsa_fp16_overflow 0
		.amdhsa_tg_split 0
		.amdhsa_exception_fp_ieee_invalid_op 0
		.amdhsa_exception_fp_denorm_src 0
		.amdhsa_exception_fp_ieee_div_zero 0
		.amdhsa_exception_fp_ieee_overflow 0
		.amdhsa_exception_fp_ieee_underflow 0
		.amdhsa_exception_fp_ieee_inexact 0
		.amdhsa_exception_int_div_zero 0
	.end_amdhsa_kernel
	.section	.text._ZL11fasten_mainILm16EEviiPK4AtomS2_PKfS4_S4_S4_S4_S4_PfPK8FFParamsi,"axG",@progbits,_ZL11fasten_mainILm16EEviiPK4AtomS2_PKfS4_S4_S4_S4_S4_PfPK8FFParamsi,comdat
.Lfunc_end4:
	.size	_ZL11fasten_mainILm16EEviiPK4AtomS2_PKfS4_S4_S4_S4_S4_PfPK8FFParamsi, .Lfunc_end4-_ZL11fasten_mainILm16EEviiPK4AtomS2_PKfS4_S4_S4_S4_S4_PfPK8FFParamsi
                                        ; -- End function
	.section	.AMDGPU.csdata,"",@progbits
; Kernel info:
; codeLenInByte = 13560
; NumSgprs: 58
; NumVgprs: 128
; NumAgprs: 0
; TotalNumVgprs: 128
; ScratchSize: 1712
; MemoryBound: 0
; FloatMode: 240
; IeeeMode: 1
; LDSByteSize: 0 bytes/workgroup (compile time only)
; SGPRBlocks: 7
; VGPRBlocks: 15
; NumSGPRsForWavesPerEU: 58
; NumVGPRsForWavesPerEU: 128
; AccumOffset: 128
; Occupancy: 4
; WaveLimiterHint : 1
; COMPUTE_PGM_RSRC2:SCRATCH_EN: 1
; COMPUTE_PGM_RSRC2:USER_SGPR: 2
; COMPUTE_PGM_RSRC2:TRAP_HANDLER: 0
; COMPUTE_PGM_RSRC2:TGID_X_EN: 1
; COMPUTE_PGM_RSRC2:TGID_Y_EN: 0
; COMPUTE_PGM_RSRC2:TGID_Z_EN: 0
; COMPUTE_PGM_RSRC2:TIDIG_COMP_CNT: 0
; COMPUTE_PGM_RSRC3_GFX90A:ACCUM_OFFSET: 31
; COMPUTE_PGM_RSRC3_GFX90A:TG_SPLIT: 0
	.section	.text._ZL11fasten_mainILm32EEviiPK4AtomS2_PKfS4_S4_S4_S4_S4_PfPK8FFParamsi,"axG",@progbits,_ZL11fasten_mainILm32EEviiPK4AtomS2_PKfS4_S4_S4_S4_S4_PfPK8FFParamsi,comdat
	.globl	_ZL11fasten_mainILm32EEviiPK4AtomS2_PKfS4_S4_S4_S4_S4_PfPK8FFParamsi ; -- Begin function _ZL11fasten_mainILm32EEviiPK4AtomS2_PKfS4_S4_S4_S4_S4_PfPK8FFParamsi
	.p2align	8
	.type	_ZL11fasten_mainILm32EEviiPK4AtomS2_PKfS4_S4_S4_S4_S4_PfPK8FFParamsi,@function
_ZL11fasten_mainILm32EEviiPK4AtomS2_PKfS4_S4_S4_S4_S4_PfPK8FFParamsi: ; @_ZL11fasten_mainILm32EEviiPK4AtomS2_PKfS4_S4_S4_S4_S4_PfPK8FFParamsi
; %bb.0:
	s_load_dword s3, s[0:1], 0x6c
	s_load_dword s4, s[0:1], 0x58
	s_load_dwordx16 s[16:31], s[0:1], 0x8
	s_mov_b32 s9, 0
	v_mov_b32_e32 v6, 0
	s_waitcnt lgkmcnt(0)
	s_and_b32 s33, s3, 0xffff
	s_mul_i32 s2, s2, s33
	v_lshl_add_u32 v4, s2, 5, v0
	s_sub_i32 s2, s4, 32
	v_mov_b32_e32 v0, s2
	v_cmp_gt_i32_e64 s[12:13], s4, v4
	v_mov_b32_e32 v2, v4
	scratch_store_dwordx2 off, v[2:3], off offset:3280 ; 8-byte Folded Spill
	v_cndmask_b32_e64 v0, v0, v4, s[12:13]
	v_ashrrev_i32_e32 v1, 31, v0
	v_lshlrev_b64 v[0:1], 2, v[0:1]
	s_lshl_b32 s8, s33, 2
	s_brev_b32 s34, 18
	s_mov_b32 s35, 0xfe5163ab
	s_mov_b32 s36, 0x3c439041
	;; [unrolled: 1-line block ×10, first 2 shown]
	v_mov_b32_e32 v7, 0x3c0881c4
	v_mov_b32_e32 v8, 0xbab64f3b
	;; [unrolled: 1-line block ×3, first 2 shown]
	s_movk_i32 s45, 0x1f8
	v_mov_b32_e32 v9, 0x80
	v_not_b32_e32 v10, 63
	v_not_b32_e32 v11, 31
	v_mov_b32_e32 v12, 0x7fc00000
	s_mov_b32 s46, s9
                                        ; implicit-def: $vgpr2
                                        ; implicit-def: $vgpr2
	;; [unrolled: 1-line block ×3, first 2 shown]
	s_branch .LBB5_2
.LBB5_1:                                ;   in Loop: Header=BB5_2 Depth=1
	s_or_b64 exec, exec, s[2:3]
	v_mul_f32_e32 v28, v27, v27
	v_fmamk_f32 v29, v28, 0xb94c1982, v7
	v_fmaak_f32 v29, v28, v29, 0xbe2aaa9d
	v_mul_f32_e32 v29, v28, v29
	v_fmac_f32_e32 v27, v27, v29
	v_fmamk_f32 v29, v28, 0x37d75334, v8
	v_fmaak_f32 v29, v28, v29, 0x3d2aabf7
	v_fmaak_f32 v29, v28, v29, 0xbf000004
	v_fma_f32 v28, v28, v29, 1.0
	v_and_b32_e32 v29, 1, v26
	v_lshlrev_b32_e32 v26, 30, v26
	v_cmp_eq_u32_e32 vcc, 0, v29
	v_and_b32_e32 v26, 0x80000000, v26
	v_xor_b32_e32 v24, v24, v23
	v_cndmask_b32_e32 v27, v28, v27, vcc
	v_xor_b32_e32 v24, v24, v26
	v_xor_b32_e32 v24, v24, v27
	v_cmp_class_f32_e64 vcc, v23, s45
	v_mul_f32_e32 v23, v22, v22
	s_nop 0
	v_cndmask_b32_e32 v28, v12, v24, vcc
	v_fmamk_f32 v24, v23, 0xb94c1982, v7
	v_fmaak_f32 v24, v23, v24, 0xbe2aaa9d
	v_mul_f32_e32 v24, v23, v24
	v_fmac_f32_e32 v22, v22, v24
	v_fmamk_f32 v24, v23, 0x37d75334, v8
	v_fmaak_f32 v24, v23, v24, 0x3d2aabf7
	v_fmaak_f32 v24, v23, v24, 0xbf000004
	v_fma_f32 v23, v23, v24, 1.0
	v_and_b32_e32 v24, 1, v4
	v_cmp_eq_u32_e64 s[2:3], 0, v24
	v_lshlrev_b32_e32 v4, 30, v4
	v_and_b32_e32 v4, 0x80000000, v4
	v_cndmask_b32_e64 v22, -v22, v23, s[2:3]
	v_mul_f32_e32 v24, v21, v21
	v_xor_b32_e32 v4, v4, v22
	v_fmamk_f32 v22, v24, 0xb94c1982, v7
	v_fmaak_f32 v22, v24, v22, 0xbe2aaa9d
	v_mul_f32_e32 v26, v24, v22
	v_lshl_add_u64 v[22:23], s[26:27], 0, v[0:1]
	global_load_dword v23, v[22:23], off
	v_fmamk_f32 v22, v24, 0x37d75334, v8
	v_fmaak_f32 v22, v24, v22, 0x3d2aabf7
	v_fmaak_f32 v22, v24, v22, 0xbf000004
	v_fma_f32 v22, v24, v22, 1.0
	v_and_b32_e32 v24, 1, v20
	v_fmac_f32_e32 v21, v21, v26
	v_lshl_add_u64 v[26:27], s[28:29], 0, v[0:1]
	v_cmp_eq_u32_e64 s[4:5], 0, v24
	v_lshlrev_b32_e32 v20, 30, v20
	global_load_dword v27, v[26:27], off
	v_cndmask_b32_e64 v22, v22, v21, s[4:5]
	v_and_b32_e32 v24, 0x80000000, v20
	v_lshl_add_u64 v[20:21], s[30:31], 0, v[0:1]
	global_load_dword v29, v[20:21], off
	v_cmp_class_f32_e64 s[2:3], v18, s45
	v_xor_b32_e32 v18, v19, v18
	v_mul_f32_e32 v19, v17, v17
	v_fmamk_f32 v20, v19, 0xb94c1982, v7
	v_fmaak_f32 v20, v19, v20, 0xbe2aaa9d
	v_mul_f32_e32 v20, v19, v20
	v_fmac_f32_e32 v17, v17, v20
	v_fmamk_f32 v20, v19, 0x37d75334, v8
	v_fmaak_f32 v20, v19, v20, 0x3d2aabf7
	v_xor_b32_e32 v18, v18, v24
	v_fmaak_f32 v20, v19, v20, 0xbf000004
	v_xor_b32_e32 v18, v18, v22
	v_fma_f32 v19, v19, v20, 1.0
	v_and_b32_e32 v20, 1, v16
	v_cndmask_b32_e64 v4, v12, v4, s[2:3]
	v_cndmask_b32_e64 v18, v12, v18, s[2:3]
	v_cmp_eq_u32_e64 s[2:3], 0, v20
	v_lshlrev_b32_e32 v16, 30, v16
	v_and_b32_e32 v16, 0x80000000, v16
	v_cndmask_b32_e64 v17, -v17, v19, s[2:3]
	v_xor_b32_e32 v16, v16, v17
	v_cmp_class_f32_e64 s[2:3], v5, s45
	v_xor_b32_e32 v5, v13, v5
	v_lshl_add_u64 v[0:1], v[0:1], 0, s[8:9]
	v_cndmask_b32_e64 v17, v12, v16, s[2:3]
	v_mul_f32_e32 v16, v15, v15
	v_fmamk_f32 v19, v16, 0xb94c1982, v7
	v_fmaak_f32 v19, v16, v19, 0xbe2aaa9d
	v_mul_f32_e32 v19, v16, v19
	v_fmac_f32_e32 v15, v15, v19
	v_fmamk_f32 v19, v16, 0x37d75334, v8
	v_fmaak_f32 v19, v16, v19, 0x3d2aabf7
	v_fmaak_f32 v19, v16, v19, 0xbf000004
	v_fma_f32 v16, v16, v19, 1.0
	v_and_b32_e32 v19, 1, v14
	v_lshlrev_b32_e32 v14, 30, v14
	v_cmp_eq_u32_e64 s[4:5], 0, v19
	v_and_b32_e32 v14, 0x80000000, v14
	v_xor_b32_e32 v5, v5, v14
	v_cndmask_b32_e64 v15, v16, v15, s[4:5]
	v_xor_b32_e32 v5, v5, v15
	v_cndmask_b32_e64 v16, v12, v5, s[2:3]
	v_mul_f32_e32 v5, v25, v25
	v_fmamk_f32 v13, v5, 0xb94c1982, v7
	v_fmaak_f32 v13, v5, v13, 0xbe2aaa9d
	v_mul_f32_e32 v13, v5, v13
	v_fmac_f32_e32 v25, v25, v13
	v_fmamk_f32 v13, v5, 0x37d75334, v8
	v_fmaak_f32 v13, v5, v13, 0x3d2aabf7
	v_fmaak_f32 v13, v5, v13, 0xbf000004
	v_fma_f32 v5, v5, v13, 1.0
	v_and_b32_e32 v13, 1, v2
	v_cmp_eq_u32_e64 s[2:3], 0, v13
	v_lshlrev_b32_e32 v2, 30, v2
	v_and_b32_e32 v2, 0x80000000, v2
	v_cndmask_b32_e64 v5, -v25, v5, s[2:3]
	v_xor_b32_e32 v2, v2, v5
	v_cndmask_b32_e32 v14, v12, v2, vcc
	v_mul_f32_e32 v13, v16, v18
	v_mul_f32_e32 v5, v13, v14
	;; [unrolled: 1-line block ×3, first 2 shown]
	v_pk_add_f32 v[20:21], v[4:5], v[14:15] neg_lo:[0,1] neg_hi:[0,1]
	v_mul_f32_e32 v5, v13, v28
	v_mul_f32_e32 v13, v17, v14
	v_add_u32_e32 v2, s46, v9
	v_mul_f32_e32 v15, v17, v18
	v_pk_add_f32 v[24:25], v[4:5], v[12:13]
	v_mul_f32_e32 v5, v16, v14
	v_mul_f32_e32 v22, v15, v14
	;; [unrolled: 1-line block ×3, first 2 shown]
	v_add_u32_e32 v19, 16, v2
	v_fma_f32 v26, v15, v28, -v5
	v_mul_f32_e32 v24, v4, v28
	v_pk_mul_f32 v[4:5], v[16:17], v[4:5] op_sel_hi:[1,0]
	s_add_i32 s2, s46, 0x80
	v_fmac_f32_e32 v22, v16, v28
	s_waitcnt vmcnt(1)
	scratch_store_dwordx4 v19, v[24:27], off
	v_add_u32_e32 v2, 32, v2
	v_mov_b32_e32 v28, v5
	v_xor_b32_e32 v26, 0x80000000, v18
	v_mov_b32_e32 v27, v4
	s_add_i32 s46, s46, 48
	scratch_store_dwordx4 off, v[20:23], s2
	s_waitcnt vmcnt(2)
	scratch_store_dwordx4 v2, v[26:29], off
	scratch_store_dword v6, v3, off
	s_cmpk_lg_i32 s46, 0x600
	v_add_u32_e32 v6, 4, v6
	s_cbranch_scc0 .LBB5_26
.LBB5_2:                                ; =>This Inner Loop Header: Depth=1
	v_lshl_add_u64 v[4:5], s[20:21], 0, v[0:1]
	global_load_dword v5, v[4:5], off
                                        ; implicit-def: $vgpr14
                                        ; implicit-def: $vgpr15
	s_waitcnt vmcnt(0)
	v_and_b32_e32 v13, 0x7fffffff, v5
	v_lshrrev_b32_e32 v2, 23, v13
	v_and_b32_e32 v4, 0x7fffff, v13
	v_cmp_nlt_f32_e64 s[10:11], |v5|, s34
	v_add_u32_e32 v18, 0xffffff88, v2
	v_or_b32_e32 v4, 0x800000, v4
	s_and_saveexec_b64 s[2:3], s[10:11]
	s_xor_b64 s[14:15], exec, s[2:3]
	s_cbranch_execz .LBB5_4
; %bb.3:                                ;   in Loop: Header=BB5_2 Depth=1
	v_cmp_lt_u32_e32 vcc, 63, v18
	s_nop 1
	v_cndmask_b32_e32 v2, 0, v10, vcc
	v_add_u32_e32 v2, v2, v18
	v_cmp_lt_u32_e64 s[2:3], 31, v2
	s_nop 1
	v_cndmask_b32_e64 v14, 0, v11, s[2:3]
	v_add_u32_e32 v2, v14, v2
	v_cmp_lt_u32_e64 s[4:5], 31, v2
	s_nop 1
	v_cndmask_b32_e64 v14, 0, v11, s[4:5]
	v_add_u32_e32 v19, v14, v2
	v_mad_u64_u32 v[14:15], s[6:7], v4, s35, 0
	v_mov_b32_e32 v2, v15
	v_mad_u64_u32 v[16:17], s[6:7], v4, s36, v[2:3]
	v_mov_b32_e32 v2, v17
	;; [unrolled: 2-line block ×6, first 2 shown]
	v_mad_u64_u32 v[28:29], s[6:7], v4, s41, v[2:3]
	v_cndmask_b32_e32 v15, v26, v22, vcc
	v_cndmask_b32_e32 v2, v28, v24, vcc
	;; [unrolled: 1-line block ×3, first 2 shown]
	v_cndmask_b32_e64 v17, v2, v15, s[2:3]
	v_cndmask_b32_e64 v2, v21, v2, s[2:3]
	v_cndmask_b32_e32 v21, v24, v20, vcc
	v_cndmask_b32_e64 v15, v15, v21, s[2:3]
	v_cndmask_b32_e32 v16, v22, v16, vcc
	v_cndmask_b32_e64 v2, v2, v17, s[4:5]
	v_cndmask_b32_e64 v17, v17, v15, s[4:5]
	v_sub_u32_e32 v23, 32, v19
	v_cmp_eq_u32_e64 s[6:7], 0, v19
	v_cndmask_b32_e64 v19, v21, v16, s[2:3]
	v_alignbit_b32 v24, v2, v17, v23
	v_cndmask_b32_e64 v15, v15, v19, s[4:5]
	v_cndmask_b32_e32 v14, v20, v14, vcc
	v_cndmask_b32_e64 v2, v24, v2, s[6:7]
	v_alignbit_b32 v21, v17, v15, v23
	v_cndmask_b32_e64 v14, v16, v14, s[2:3]
	v_cndmask_b32_e64 v17, v21, v17, s[6:7]
	v_bfe_u32 v24, v2, 29, 1
	v_cndmask_b32_e64 v14, v19, v14, s[4:5]
	v_alignbit_b32 v21, v2, v17, 30
	v_sub_u32_e32 v25, 0, v24
	v_alignbit_b32 v16, v15, v14, v23
	v_xor_b32_e32 v26, v21, v25
	v_cndmask_b32_e64 v15, v16, v15, s[6:7]
	v_alignbit_b32 v16, v17, v15, 30
	v_ffbh_u32_e32 v17, v26
	v_add_u32_e32 v17, 1, v17
	v_cmp_ne_u32_e32 vcc, v21, v25
	v_alignbit_b32 v14, v15, v14, 30
	v_xor_b32_e32 v16, v16, v25
	v_cndmask_b32_e32 v17, 33, v17, vcc
	v_sub_u32_e32 v19, 32, v17
	v_xor_b32_e32 v14, v14, v25
	v_alignbit_b32 v20, v26, v16, v19
	v_alignbit_b32 v14, v16, v14, v19
	;; [unrolled: 1-line block ×3, first 2 shown]
	v_ffbh_u32_e32 v16, v15
	v_min_u32_e32 v16, 32, v16
	v_lshrrev_b32_e32 v22, 29, v2
	v_sub_u32_e32 v19, 31, v16
	v_alignbit_b32 v14, v15, v14, v19
	v_lshlrev_b32_e32 v15, 31, v22
	v_or_b32_e32 v19, 0x33800000, v15
	v_add_lshl_u32 v16, v16, v17, 23
	v_lshrrev_b32_e32 v14, 9, v14
	v_sub_u32_e32 v16, v19, v16
	v_or_b32_e32 v14, v16, v14
	v_alignbit_b32 v16, v17, v20, 9
	v_or_b32_e32 v15, v16, v15
	v_xor_b32_e32 v15, 1.0, v15
	v_mul_f32_e32 v16, 0x3fc90fda, v15
	v_fma_f32 v17, v15, s42, -v16
	v_fmac_f32_e32 v17, 0x33a22168, v15
	v_fmac_f32_e32 v17, 0x3fc90fda, v14
	v_lshrrev_b32_e32 v2, 30, v2
	v_add_f32_e32 v15, v16, v17
	v_add_u32_e32 v14, v24, v2
.LBB5_4:                                ;   in Loop: Header=BB5_2 Depth=1
	s_or_saveexec_b64 s[2:3], s[14:15]
	v_mul_f32_e64 v2, |v5|, s43
	v_rndne_f32_e32 v2, v2
	s_xor_b64 exec, exec, s[2:3]
; %bb.5:                                ;   in Loop: Header=BB5_2 Depth=1
	v_cvt_i32_f32_e32 v14, v2
	v_fma_f32 v15, v2, s44, |v5|
	v_fmac_f32_e32 v15, 0xb3a22168, v2
	v_fmac_f32_e32 v15, 0xa7c234c4, v2
; %bb.6:                                ;   in Loop: Header=BB5_2 Depth=1
	s_or_b64 exec, exec, s[2:3]
                                        ; implicit-def: $vgpr16
                                        ; implicit-def: $vgpr17
	s_and_saveexec_b64 s[2:3], s[10:11]
	s_xor_b64 s[10:11], exec, s[2:3]
	s_cbranch_execz .LBB5_8
; %bb.7:                                ;   in Loop: Header=BB5_2 Depth=1
	v_cmp_lt_u32_e32 vcc, 63, v18
	s_nop 1
	v_cndmask_b32_e32 v2, 0, v10, vcc
	v_add_u32_e32 v2, v2, v18
	v_cmp_lt_u32_e64 s[2:3], 31, v2
	s_nop 1
	v_cndmask_b32_e64 v16, 0, v11, s[2:3]
	v_add_u32_e32 v2, v16, v2
	v_cmp_lt_u32_e64 s[4:5], 31, v2
	s_nop 1
	v_cndmask_b32_e64 v16, 0, v11, s[4:5]
	v_add_u32_e32 v30, v16, v2
	v_mad_u64_u32 v[16:17], s[6:7], v4, s35, 0
	v_mov_b32_e32 v2, v17
	v_mad_u64_u32 v[18:19], s[6:7], v4, s36, v[2:3]
	v_mov_b32_e32 v2, v19
	;; [unrolled: 2-line block ×6, first 2 shown]
	v_mad_u64_u32 v[28:29], s[6:7], v4, s41, v[2:3]
	v_cndmask_b32_e32 v17, v26, v22, vcc
	v_cndmask_b32_e32 v2, v28, v24, vcc
	;; [unrolled: 1-line block ×3, first 2 shown]
	v_cndmask_b32_e64 v4, v2, v17, s[2:3]
	v_cndmask_b32_e64 v2, v19, v2, s[2:3]
	v_cndmask_b32_e32 v19, v24, v20, vcc
	v_cndmask_b32_e64 v17, v17, v19, s[2:3]
	v_cndmask_b32_e32 v18, v22, v18, vcc
	v_cndmask_b32_e64 v2, v2, v4, s[4:5]
	v_cndmask_b32_e64 v4, v4, v17, s[4:5]
	v_sub_u32_e32 v21, 32, v30
	v_cndmask_b32_e64 v19, v19, v18, s[2:3]
	v_alignbit_b32 v23, v2, v4, v21
	v_cmp_eq_u32_e64 s[6:7], 0, v30
	v_cndmask_b32_e64 v17, v17, v19, s[4:5]
	v_alignbit_b32 v22, v4, v17, v21
	v_cndmask_b32_e64 v2, v23, v2, s[6:7]
	v_cndmask_b32_e32 v16, v20, v16, vcc
	v_cndmask_b32_e64 v4, v22, v4, s[6:7]
	v_bfe_u32 v24, v2, 29, 1
	v_cndmask_b32_e64 v16, v18, v16, s[2:3]
	v_alignbit_b32 v22, v2, v4, 30
	v_sub_u32_e32 v25, 0, v24
	v_cndmask_b32_e64 v16, v19, v16, s[4:5]
	v_xor_b32_e32 v26, v22, v25
	v_alignbit_b32 v18, v17, v16, v21
	v_cndmask_b32_e64 v17, v18, v17, s[6:7]
	v_ffbh_u32_e32 v18, v26
	v_add_u32_e32 v18, 1, v18
	v_cmp_ne_u32_e32 vcc, v22, v25
	v_alignbit_b32 v4, v4, v17, 30
	v_alignbit_b32 v16, v17, v16, 30
	v_cndmask_b32_e32 v18, 33, v18, vcc
	v_xor_b32_e32 v4, v4, v25
	v_sub_u32_e32 v19, 32, v18
	v_xor_b32_e32 v16, v16, v25
	v_alignbit_b32 v20, v26, v4, v19
	v_alignbit_b32 v4, v4, v16, v19
	;; [unrolled: 1-line block ×3, first 2 shown]
	v_ffbh_u32_e32 v17, v16
	v_min_u32_e32 v17, 32, v17
	v_lshrrev_b32_e32 v23, 29, v2
	v_sub_u32_e32 v19, 31, v17
	v_alignbit_b32 v4, v16, v4, v19
	v_lshlrev_b32_e32 v16, 31, v23
	v_or_b32_e32 v19, 0x33800000, v16
	v_add_lshl_u32 v17, v17, v18, 23
	v_lshrrev_b32_e32 v4, 9, v4
	v_sub_u32_e32 v17, v19, v17
	v_or_b32_e32 v4, v17, v4
	v_alignbit_b32 v17, v18, v20, 9
	v_or_b32_e32 v16, v17, v16
	v_xor_b32_e32 v16, 1.0, v16
	v_mul_f32_e32 v17, 0x3fc90fda, v16
	v_fma_f32 v18, v16, s42, -v17
	v_fmac_f32_e32 v18, 0x33a22168, v16
	v_fmac_f32_e32 v18, 0x3fc90fda, v4
	v_lshrrev_b32_e32 v2, 30, v2
	v_add_f32_e32 v17, v17, v18
	v_add_u32_e32 v16, v24, v2
                                        ; implicit-def: $vgpr2
	s_andn2_saveexec_b64 s[2:3], s[10:11]
	s_cbranch_execnz .LBB5_9
	s_branch .LBB5_10
.LBB5_8:                                ;   in Loop: Header=BB5_2 Depth=1
	s_andn2_saveexec_b64 s[2:3], s[10:11]
.LBB5_9:                                ;   in Loop: Header=BB5_2 Depth=1
	v_cvt_i32_f32_e32 v16, v2
	v_fma_f32 v17, v2, s44, |v5|
	v_fmac_f32_e32 v17, 0xb3a22168, v2
	v_fmac_f32_e32 v17, 0xa7c234c4, v2
.LBB5_10:                               ;   in Loop: Header=BB5_2 Depth=1
	s_or_b64 exec, exec, s[2:3]
	v_lshl_add_u64 v[18:19], s[22:23], 0, v[0:1]
	global_load_dword v18, v[18:19], off
                                        ; implicit-def: $vgpr20
                                        ; implicit-def: $vgpr21
	s_waitcnt vmcnt(0)
	v_and_b32_e32 v19, 0x7fffffff, v18
	v_lshrrev_b32_e32 v2, 23, v19
	v_and_b32_e32 v4, 0x7fffff, v19
	v_cmp_nlt_f32_e64 s[10:11], |v18|, s34
	v_add_u32_e32 v24, 0xffffff88, v2
	v_or_b32_e32 v23, 0x800000, v4
	s_and_saveexec_b64 s[2:3], s[10:11]
	s_xor_b64 s[14:15], exec, s[2:3]
	s_cbranch_execz .LBB5_12
; %bb.11:                               ;   in Loop: Header=BB5_2 Depth=1
	v_cmp_lt_u32_e32 vcc, 63, v24
	v_mad_u64_u32 v[20:21], s[6:7], v23, s35, 0
	s_nop 0
	v_cndmask_b32_e32 v2, 0, v10, vcc
	v_add_u32_e32 v2, v2, v24
	v_cmp_lt_u32_e64 s[2:3], 31, v2
	s_nop 1
	v_cndmask_b32_e64 v4, 0, v11, s[2:3]
	v_add_u32_e32 v2, v4, v2
	v_cmp_lt_u32_e64 s[4:5], 31, v2
	s_nop 1
	v_cndmask_b32_e64 v4, 0, v11, s[4:5]
	v_add_u32_e32 v4, v4, v2
	v_mov_b32_e32 v2, v21
	v_mad_u64_u32 v[26:27], s[6:7], v23, s36, v[2:3]
	v_mov_b32_e32 v2, v27
	v_mad_u64_u32 v[28:29], s[6:7], v23, s37, v[2:3]
	;; [unrolled: 2-line block ×6, first 2 shown]
	v_cndmask_b32_e32 v21, v34, v30, vcc
	v_cndmask_b32_e32 v2, v36, v32, vcc
	;; [unrolled: 1-line block ×3, first 2 shown]
	v_cndmask_b32_e64 v22, v2, v21, s[2:3]
	v_cndmask_b32_e64 v2, v25, v2, s[2:3]
	v_cndmask_b32_e32 v25, v32, v28, vcc
	v_cndmask_b32_e64 v21, v21, v25, s[2:3]
	v_sub_u32_e32 v27, 32, v4
	v_cmp_eq_u32_e64 s[6:7], 0, v4
	v_cndmask_b32_e32 v4, v30, v26, vcc
	v_cndmask_b32_e64 v2, v2, v22, s[4:5]
	v_cndmask_b32_e64 v22, v22, v21, s[4:5]
	;; [unrolled: 1-line block ×3, first 2 shown]
	v_alignbit_b32 v29, v2, v22, v27
	v_cndmask_b32_e64 v21, v21, v25, s[4:5]
	v_cndmask_b32_e32 v20, v28, v20, vcc
	v_cndmask_b32_e64 v2, v29, v2, s[6:7]
	v_alignbit_b32 v26, v22, v21, v27
	v_cndmask_b32_e64 v4, v4, v20, s[2:3]
	v_cndmask_b32_e64 v22, v26, v22, s[6:7]
	v_bfe_u32 v30, v2, 29, 1
	v_cndmask_b32_e64 v4, v25, v4, s[4:5]
	v_alignbit_b32 v26, v2, v22, 30
	v_sub_u32_e32 v31, 0, v30
	v_alignbit_b32 v20, v21, v4, v27
	v_xor_b32_e32 v32, v26, v31
	v_cndmask_b32_e64 v20, v20, v21, s[6:7]
	v_alignbit_b32 v21, v22, v20, 30
	v_ffbh_u32_e32 v22, v32
	v_add_u32_e32 v22, 1, v22
	v_cmp_ne_u32_e32 vcc, v26, v31
	v_alignbit_b32 v4, v20, v4, 30
	v_xor_b32_e32 v21, v21, v31
	v_cndmask_b32_e32 v22, 33, v22, vcc
	v_sub_u32_e32 v25, 32, v22
	v_xor_b32_e32 v4, v4, v31
	v_alignbit_b32 v26, v32, v21, v25
	v_alignbit_b32 v4, v21, v4, v25
	;; [unrolled: 1-line block ×3, first 2 shown]
	v_ffbh_u32_e32 v21, v20
	v_min_u32_e32 v21, 32, v21
	v_lshrrev_b32_e32 v29, 29, v2
	v_sub_u32_e32 v25, 31, v21
	v_alignbit_b32 v4, v20, v4, v25
	v_lshlrev_b32_e32 v20, 31, v29
	v_or_b32_e32 v25, 0x33800000, v20
	v_add_lshl_u32 v21, v21, v22, 23
	v_lshrrev_b32_e32 v4, 9, v4
	v_sub_u32_e32 v21, v25, v21
	v_or_b32_e32 v4, v21, v4
	v_alignbit_b32 v21, v22, v26, 9
	v_or_b32_e32 v20, v21, v20
	v_xor_b32_e32 v20, 1.0, v20
	v_mul_f32_e32 v21, 0x3fc90fda, v20
	v_fma_f32 v22, v20, s42, -v21
	v_fmac_f32_e32 v22, 0x33a22168, v20
	v_fmac_f32_e32 v22, 0x3fc90fda, v4
	v_lshrrev_b32_e32 v2, 30, v2
	v_add_f32_e32 v21, v21, v22
	v_add_u32_e32 v20, v30, v2
.LBB5_12:                               ;   in Loop: Header=BB5_2 Depth=1
	s_or_saveexec_b64 s[2:3], s[14:15]
	v_mul_f32_e64 v2, |v18|, s43
	v_rndne_f32_e32 v2, v2
	s_xor_b64 exec, exec, s[2:3]
; %bb.13:                               ;   in Loop: Header=BB5_2 Depth=1
	v_cvt_i32_f32_e32 v20, v2
	v_fma_f32 v21, v2, s44, |v18|
	v_fmac_f32_e32 v21, 0xb3a22168, v2
	v_fmac_f32_e32 v21, 0xa7c234c4, v2
; %bb.14:                               ;   in Loop: Header=BB5_2 Depth=1
	s_or_b64 exec, exec, s[2:3]
                                        ; implicit-def: $vgpr4
                                        ; implicit-def: $vgpr22
	s_and_saveexec_b64 s[2:3], s[10:11]
	s_xor_b64 s[10:11], exec, s[2:3]
	s_cbranch_execz .LBB5_16
; %bb.15:                               ;   in Loop: Header=BB5_2 Depth=1
	v_cmp_lt_u32_e32 vcc, 63, v24
	s_nop 1
	v_cndmask_b32_e32 v2, 0, v10, vcc
	v_add_u32_e32 v2, v2, v24
	v_cmp_lt_u32_e64 s[2:3], 31, v2
	v_mad_u64_u32 v[24:25], s[6:7], v23, s35, 0
	s_nop 0
	v_cndmask_b32_e64 v4, 0, v11, s[2:3]
	v_add_u32_e32 v2, v4, v2
	v_cmp_lt_u32_e64 s[4:5], 31, v2
	s_nop 1
	v_cndmask_b32_e64 v4, 0, v11, s[4:5]
	v_add_u32_e32 v4, v4, v2
	v_mov_b32_e32 v2, v25
	v_mad_u64_u32 v[26:27], s[6:7], v23, s36, v[2:3]
	v_mov_b32_e32 v2, v27
	v_mad_u64_u32 v[28:29], s[6:7], v23, s37, v[2:3]
	;; [unrolled: 2-line block ×6, first 2 shown]
	v_cndmask_b32_e32 v25, v34, v30, vcc
	v_cndmask_b32_e32 v2, v22, v32, vcc
	;; [unrolled: 1-line block ×3, first 2 shown]
	v_cndmask_b32_e64 v22, v2, v25, s[2:3]
	v_cndmask_b32_e64 v2, v23, v2, s[2:3]
	v_cndmask_b32_e32 v23, v32, v28, vcc
	v_cndmask_b32_e64 v25, v25, v23, s[2:3]
	v_sub_u32_e32 v27, 32, v4
	v_cmp_eq_u32_e64 s[6:7], 0, v4
	v_cndmask_b32_e32 v4, v30, v26, vcc
	v_cndmask_b32_e64 v2, v2, v22, s[4:5]
	v_cndmask_b32_e64 v22, v22, v25, s[4:5]
	;; [unrolled: 1-line block ×3, first 2 shown]
	v_alignbit_b32 v29, v2, v22, v27
	v_cndmask_b32_e64 v25, v25, v23, s[4:5]
	v_cndmask_b32_e64 v2, v29, v2, s[6:7]
	v_alignbit_b32 v26, v22, v25, v27
	v_cndmask_b32_e64 v22, v26, v22, s[6:7]
	v_bfe_u32 v30, v2, 29, 1
	v_cndmask_b32_e32 v24, v28, v24, vcc
	v_alignbit_b32 v26, v2, v22, 30
	v_sub_u32_e32 v31, 0, v30
	v_cndmask_b32_e64 v4, v4, v24, s[2:3]
	v_xor_b32_e32 v32, v26, v31
	v_cndmask_b32_e64 v4, v23, v4, s[4:5]
	v_alignbit_b32 v23, v25, v4, v27
	v_ffbh_u32_e32 v24, v32
	v_cndmask_b32_e64 v23, v23, v25, s[6:7]
	v_add_u32_e32 v24, 1, v24
	v_cmp_ne_u32_e32 vcc, v26, v31
	v_alignbit_b32 v22, v22, v23, 30
	v_alignbit_b32 v4, v23, v4, 30
	v_cndmask_b32_e32 v24, 33, v24, vcc
	v_xor_b32_e32 v22, v22, v31
	v_sub_u32_e32 v25, 32, v24
	v_xor_b32_e32 v4, v4, v31
	v_alignbit_b32 v26, v32, v22, v25
	v_alignbit_b32 v4, v22, v4, v25
	;; [unrolled: 1-line block ×3, first 2 shown]
	v_ffbh_u32_e32 v23, v22
	v_min_u32_e32 v23, 32, v23
	v_lshrrev_b32_e32 v29, 29, v2
	v_sub_u32_e32 v25, 31, v23
	v_alignbit_b32 v4, v22, v4, v25
	v_lshlrev_b32_e32 v22, 31, v29
	v_or_b32_e32 v25, 0x33800000, v22
	v_add_lshl_u32 v23, v23, v24, 23
	v_lshrrev_b32_e32 v4, 9, v4
	v_sub_u32_e32 v23, v25, v23
	v_or_b32_e32 v4, v23, v4
	v_alignbit_b32 v23, v24, v26, 9
	v_or_b32_e32 v22, v23, v22
	v_xor_b32_e32 v22, 1.0, v22
	v_mul_f32_e32 v23, 0x3fc90fda, v22
	v_fma_f32 v24, v22, s42, -v23
	v_fmac_f32_e32 v24, 0x33a22168, v22
	v_fmac_f32_e32 v24, 0x3fc90fda, v4
	v_lshrrev_b32_e32 v2, 30, v2
	v_add_f32_e32 v22, v23, v24
	v_add_u32_e32 v4, v30, v2
                                        ; implicit-def: $vgpr2
	s_andn2_saveexec_b64 s[2:3], s[10:11]
	s_cbranch_execnz .LBB5_17
	s_branch .LBB5_18
.LBB5_16:                               ;   in Loop: Header=BB5_2 Depth=1
	s_andn2_saveexec_b64 s[2:3], s[10:11]
.LBB5_17:                               ;   in Loop: Header=BB5_2 Depth=1
	v_cvt_i32_f32_e32 v4, v2
	v_fma_f32 v22, v2, s44, |v18|
	v_fmac_f32_e32 v22, 0xb3a22168, v2
	v_fmac_f32_e32 v22, 0xa7c234c4, v2
.LBB5_18:                               ;   in Loop: Header=BB5_2 Depth=1
	s_or_b64 exec, exec, s[2:3]
	v_lshl_add_u64 v[24:25], s[24:25], 0, v[0:1]
	global_load_dword v23, v[24:25], off
                                        ; implicit-def: $vgpr26
                                        ; implicit-def: $vgpr27
	s_waitcnt vmcnt(0)
	v_and_b32_e32 v24, 0x7fffffff, v23
	v_lshrrev_b32_e32 v2, 23, v24
	v_and_b32_e32 v25, 0x7fffff, v24
	v_cmp_nlt_f32_e64 s[10:11], |v23|, s34
	v_add_u32_e32 v29, 0xffffff88, v2
	v_or_b32_e32 v28, 0x800000, v25
	s_and_saveexec_b64 s[2:3], s[10:11]
	s_xor_b64 s[14:15], exec, s[2:3]
	s_cbranch_execz .LBB5_20
; %bb.19:                               ;   in Loop: Header=BB5_2 Depth=1
	v_cmp_lt_u32_e32 vcc, 63, v29
	v_mad_u64_u32 v[26:27], s[6:7], v28, s35, 0
	s_nop 0
	v_cndmask_b32_e32 v2, 0, v10, vcc
	v_add_u32_e32 v2, v2, v29
	v_cmp_lt_u32_e64 s[2:3], 31, v2
	s_nop 1
	v_cndmask_b32_e64 v25, 0, v11, s[2:3]
	v_add_u32_e32 v2, v25, v2
	v_cmp_lt_u32_e64 s[4:5], 31, v2
	s_nop 1
	v_cndmask_b32_e64 v25, 0, v11, s[4:5]
	v_add_u32_e32 v25, v25, v2
	v_mov_b32_e32 v2, v27
	v_mad_u64_u32 v[30:31], s[6:7], v28, s36, v[2:3]
	v_mov_b32_e32 v2, v31
	v_mad_u64_u32 v[32:33], s[6:7], v28, s37, v[2:3]
	;; [unrolled: 2-line block ×6, first 2 shown]
	v_cndmask_b32_e32 v27, v38, v34, vcc
	v_cndmask_b32_e32 v2, v40, v36, vcc
	;; [unrolled: 1-line block ×3, first 2 shown]
	v_cndmask_b32_e64 v31, v2, v27, s[2:3]
	v_cndmask_b32_e64 v2, v33, v2, s[2:3]
	v_cndmask_b32_e32 v33, v36, v32, vcc
	v_cndmask_b32_e64 v27, v27, v33, s[2:3]
	v_sub_u32_e32 v35, 32, v25
	v_cmp_eq_u32_e64 s[6:7], 0, v25
	v_cndmask_b32_e32 v25, v34, v30, vcc
	v_cndmask_b32_e64 v2, v2, v31, s[4:5]
	v_cndmask_b32_e64 v31, v31, v27, s[4:5]
	;; [unrolled: 1-line block ×3, first 2 shown]
	v_alignbit_b32 v36, v2, v31, v35
	v_cndmask_b32_e64 v27, v27, v30, s[4:5]
	v_cndmask_b32_e64 v2, v36, v2, s[6:7]
	v_alignbit_b32 v33, v31, v27, v35
	v_cndmask_b32_e64 v31, v33, v31, s[6:7]
	v_bfe_u32 v36, v2, 29, 1
	v_cndmask_b32_e32 v26, v32, v26, vcc
	v_alignbit_b32 v33, v2, v31, 30
	v_sub_u32_e32 v37, 0, v36
	v_cndmask_b32_e64 v25, v25, v26, s[2:3]
	v_xor_b32_e32 v38, v33, v37
	v_cndmask_b32_e64 v25, v30, v25, s[4:5]
	v_alignbit_b32 v26, v27, v25, v35
	v_ffbh_u32_e32 v30, v38
	v_cndmask_b32_e64 v26, v26, v27, s[6:7]
	v_add_u32_e32 v30, 1, v30
	v_cmp_ne_u32_e32 vcc, v33, v37
	v_alignbit_b32 v27, v31, v26, 30
	v_alignbit_b32 v25, v26, v25, 30
	v_cndmask_b32_e32 v30, 33, v30, vcc
	v_xor_b32_e32 v27, v27, v37
	v_sub_u32_e32 v31, 32, v30
	v_xor_b32_e32 v25, v25, v37
	v_alignbit_b32 v32, v38, v27, v31
	v_alignbit_b32 v25, v27, v25, v31
	;; [unrolled: 1-line block ×3, first 2 shown]
	v_ffbh_u32_e32 v27, v26
	v_min_u32_e32 v27, 32, v27
	v_lshrrev_b32_e32 v34, 29, v2
	v_sub_u32_e32 v31, 31, v27
	v_alignbit_b32 v25, v26, v25, v31
	v_lshlrev_b32_e32 v26, 31, v34
	v_or_b32_e32 v31, 0x33800000, v26
	v_add_lshl_u32 v27, v27, v30, 23
	v_lshrrev_b32_e32 v25, 9, v25
	v_sub_u32_e32 v27, v31, v27
	v_or_b32_e32 v25, v27, v25
	v_alignbit_b32 v27, v30, v32, 9
	v_or_b32_e32 v26, v27, v26
	v_xor_b32_e32 v26, 1.0, v26
	v_mul_f32_e32 v27, 0x3fc90fda, v26
	v_fma_f32 v30, v26, s42, -v27
	v_fmac_f32_e32 v30, 0x33a22168, v26
	v_fmac_f32_e32 v30, 0x3fc90fda, v25
	v_lshrrev_b32_e32 v2, 30, v2
	v_add_f32_e32 v27, v27, v30
	v_add_u32_e32 v26, v36, v2
.LBB5_20:                               ;   in Loop: Header=BB5_2 Depth=1
	s_or_saveexec_b64 s[2:3], s[14:15]
	v_mul_f32_e64 v2, |v23|, s43
	v_rndne_f32_e32 v30, v2
	s_xor_b64 exec, exec, s[2:3]
; %bb.21:                               ;   in Loop: Header=BB5_2 Depth=1
	v_cvt_i32_f32_e32 v26, v30
	v_fma_f32 v27, v30, s44, |v23|
	v_fmac_f32_e32 v27, 0xb3a22168, v30
	v_fmac_f32_e32 v27, 0xa7c234c4, v30
; %bb.22:                               ;   in Loop: Header=BB5_2 Depth=1
	s_or_b64 exec, exec, s[2:3]
                                        ; implicit-def: $vgpr2
                                        ; implicit-def: $vgpr25
	s_and_saveexec_b64 s[2:3], s[10:11]
	s_xor_b64 s[10:11], exec, s[2:3]
	s_cbranch_execz .LBB5_24
; %bb.23:                               ;   in Loop: Header=BB5_2 Depth=1
	v_cmp_lt_u32_e32 vcc, 63, v29
	v_mad_u64_u32 v[30:31], s[6:7], v28, s35, 0
	s_nop 0
	v_cndmask_b32_e32 v2, 0, v10, vcc
	v_add_u32_e32 v2, v2, v29
	v_cmp_lt_u32_e64 s[2:3], 31, v2
	s_nop 1
	v_cndmask_b32_e64 v25, 0, v11, s[2:3]
	v_add_u32_e32 v2, v25, v2
	v_cmp_lt_u32_e64 s[4:5], 31, v2
	s_nop 1
	v_cndmask_b32_e64 v25, 0, v11, s[4:5]
	v_add_u32_e32 v25, v25, v2
	v_mov_b32_e32 v2, v31
	v_mad_u64_u32 v[32:33], s[6:7], v28, s36, v[2:3]
	v_mov_b32_e32 v2, v33
	v_mad_u64_u32 v[34:35], s[6:7], v28, s37, v[2:3]
	;; [unrolled: 2-line block ×6, first 2 shown]
	v_cndmask_b32_e32 v31, v40, v36, vcc
	v_cndmask_b32_e32 v2, v28, v38, vcc
	;; [unrolled: 1-line block ×3, first 2 shown]
	v_cndmask_b32_e64 v28, v2, v31, s[2:3]
	v_cndmask_b32_e64 v2, v29, v2, s[2:3]
	v_cndmask_b32_e32 v29, v38, v34, vcc
	v_cndmask_b32_e64 v31, v31, v29, s[2:3]
	v_sub_u32_e32 v33, 32, v25
	v_cmp_eq_u32_e64 s[6:7], 0, v25
	v_cndmask_b32_e32 v25, v36, v32, vcc
	v_cndmask_b32_e64 v2, v2, v28, s[4:5]
	v_cndmask_b32_e64 v28, v28, v31, s[4:5]
	;; [unrolled: 1-line block ×3, first 2 shown]
	v_alignbit_b32 v35, v2, v28, v33
	v_cndmask_b32_e64 v31, v31, v29, s[4:5]
	v_cndmask_b32_e64 v2, v35, v2, s[6:7]
	v_alignbit_b32 v32, v28, v31, v33
	v_cndmask_b32_e64 v28, v32, v28, s[6:7]
	v_bfe_u32 v36, v2, 29, 1
	v_cndmask_b32_e32 v30, v34, v30, vcc
	v_alignbit_b32 v32, v2, v28, 30
	v_sub_u32_e32 v37, 0, v36
	v_cndmask_b32_e64 v25, v25, v30, s[2:3]
	v_xor_b32_e32 v38, v32, v37
	v_cndmask_b32_e64 v25, v29, v25, s[4:5]
	v_alignbit_b32 v29, v31, v25, v33
	v_ffbh_u32_e32 v30, v38
	v_cndmask_b32_e64 v29, v29, v31, s[6:7]
	v_add_u32_e32 v30, 1, v30
	v_cmp_ne_u32_e32 vcc, v32, v37
	v_alignbit_b32 v28, v28, v29, 30
	v_alignbit_b32 v25, v29, v25, 30
	v_cndmask_b32_e32 v30, 33, v30, vcc
	v_xor_b32_e32 v28, v28, v37
	v_sub_u32_e32 v31, 32, v30
	v_xor_b32_e32 v25, v25, v37
	v_alignbit_b32 v32, v38, v28, v31
	v_alignbit_b32 v25, v28, v25, v31
	;; [unrolled: 1-line block ×3, first 2 shown]
	v_ffbh_u32_e32 v29, v28
	v_min_u32_e32 v29, 32, v29
	v_lshrrev_b32_e32 v35, 29, v2
	v_sub_u32_e32 v31, 31, v29
	v_alignbit_b32 v25, v28, v25, v31
	v_lshlrev_b32_e32 v28, 31, v35
	v_or_b32_e32 v31, 0x33800000, v28
	v_add_lshl_u32 v29, v29, v30, 23
	v_lshrrev_b32_e32 v25, 9, v25
	v_sub_u32_e32 v29, v31, v29
	v_or_b32_e32 v25, v29, v25
	v_alignbit_b32 v29, v30, v32, 9
	v_or_b32_e32 v28, v29, v28
	v_xor_b32_e32 v28, 1.0, v28
	v_mul_f32_e32 v29, 0x3fc90fda, v28
	v_fma_f32 v30, v28, s42, -v29
	v_fmac_f32_e32 v30, 0x33a22168, v28
	v_fmac_f32_e32 v30, 0x3fc90fda, v25
	v_lshrrev_b32_e32 v2, 30, v2
	v_add_f32_e32 v25, v29, v30
	v_add_u32_e32 v2, v36, v2
                                        ; implicit-def: $vgpr30
	s_andn2_saveexec_b64 s[2:3], s[10:11]
	s_cbranch_execz .LBB5_1
	s_branch .LBB5_25
.LBB5_24:                               ;   in Loop: Header=BB5_2 Depth=1
	s_andn2_saveexec_b64 s[2:3], s[10:11]
	s_cbranch_execz .LBB5_1
.LBB5_25:                               ;   in Loop: Header=BB5_2 Depth=1
	v_cvt_i32_f32_e32 v2, v30
	v_fma_f32 v25, v30, s44, |v23|
	v_fmac_f32_e32 v25, 0xb3a22168, v30
	v_fmac_f32_e32 v25, 0xa7c234c4, v30
	s_branch .LBB5_1
.LBB5_26:
	scratch_load_dwordx4 v[0:3], off, off offset:204
	scratch_load_dwordx4 v[4:7], off, off offset:300
	;; [unrolled: 1-line block ×13, first 2 shown]
	scratch_load_dwordx2 v[52:53], off, off offset:168
	scratch_load_dwordx2 v[54:55], off, off offset:360
	s_load_dwordx2 s[2:3], s[0:1], 0x0
	s_load_dwordx4 s[20:23], s[0:1], 0x48
	scratch_load_dwordx4 v[56:59], off, off offset:156
	scratch_load_dwordx2 v[60:61], off, off offset:152
	scratch_load_dwordx4 v[62:65], off, off offset:252
	scratch_load_dwordx2 v[66:67], off, off offset:264
	scratch_load_dwordx3 v[68:70], off, off offset:316
	s_mov_b32 s27, 0
	s_movk_i32 s37, 0x46
	s_waitcnt lgkmcnt(0)
	s_max_i32 s29, s3, 1
	s_max_i32 s36, s2, 1
	s_add_u32 s24, s16, 8
	s_addc_u32 s25, s17, 0
	s_movk_i32 s38, 0x45
	s_mov_b32 s39, 0xf800000
	s_mov_b32 s28, 0x42340000
	;; [unrolled: 1-line block ×3, first 2 shown]
	v_mov_b32_e32 v127, 0x260
	v_mov_b32_e32 v125, 0x42980000
	s_waitcnt vmcnt(6)
	v_mov_b32_e32 v53, v3
	s_waitcnt vmcnt(1)
	v_mov_b32_e32 v67, v7
	v_mov_b32_e32 v55, v11
	;; [unrolled: 1-line block ×5, first 2 shown]
	s_waitcnt vmcnt(0)
	scratch_store_dwordx3 off, v[68:70], off offset:2184 ; 12-byte Folded Spill
	scratch_load_dwordx4 v[68:71], off, off offset:348
	s_nop 0
	scratch_load_dwordx2 v[72:73], off, off offset:344
	scratch_load_dwordx4 v[74:77], off, off offset:444
	scratch_load_dwordx2 v[78:79], off, off offset:456
	scratch_load_dwordx3 v[80:82], off, off offset:508
	s_waitcnt vmcnt(1)
	v_mov_b32_e32 v79, v15
	v_mov_b32_e32 v77, v14
	;; [unrolled: 1-line block ×4, first 2 shown]
	s_waitcnt vmcnt(0)
	scratch_store_dwordx3 off, v[80:82], off offset:2244 ; 12-byte Folded Spill
	scratch_load_dwordx4 v[80:83], off, off offset:128
	s_nop 0
	scratch_load_dwordx3 v[84:86], off, off offset:140
	s_waitcnt vmcnt(1)
	v_mov_b32_e32 v83, v47
	s_waitcnt vmcnt(0)
	scratch_store_dwordx3 off, v[84:86], off offset:2272 ; 12-byte Folded Spill
	scratch_load_dwordx2 v[84:85], off, off offset:232
	s_nop 0
	scratch_load_dwordx3 v[86:88], off, off offset:220
	s_waitcnt vmcnt(1)
	v_mov_b32_e32 v85, v39
	s_waitcnt vmcnt(0)
	scratch_store_dwordx3 off, v[86:88], off offset:2292 ; 12-byte Folded Spill
	scratch_load_dwordx2 v[86:87], off, off offset:248
	;; [unrolled: 7-line block ×6, first 2 shown]
	s_nop 0
	scratch_load_dwordx3 v[96:98], off, off offset:524
	s_waitcnt vmcnt(1)
	v_mov_b32_e32 v95, v51
	scratch_store_dwordx2 off, v[52:53], off offset:2120 ; 8-byte Folded Spill
	scratch_store_dwordx2 off, v[66:67], off offset:2176 ; 8-byte Folded Spill
	;; [unrolled: 1-line block ×3, first 2 shown]
	s_waitcnt vmcnt(3)
	scratch_store_dwordx3 off, v[96:98], off offset:2392 ; 12-byte Folded Spill
	scratch_store_dwordx2 off, v[78:79], off offset:2236 ; 8-byte Folded Spill
	scratch_store_dwordx4 off, v[12:15], off offset:1960 ; 16-byte Folded Spill
	scratch_store_dwordx4 off, v[74:77], off offset:2220 ; 16-byte Folded Spill
	scratch_store_dwordx4 off, v[8:11], off offset:1944 ; 16-byte Folded Spill
	scratch_store_dwordx4 off, v[68:71], off offset:2196 ; 16-byte Folded Spill
	scratch_store_dwordx4 off, v[4:7], off offset:1928 ; 16-byte Folded Spill
	scratch_store_dwordx4 off, v[62:65], off offset:2160 ; 16-byte Folded Spill
	scratch_store_dwordx4 off, v[0:3], off offset:1912 ; 16-byte Folded Spill
	scratch_store_dwordx4 off, v[56:59], off offset:2136 ; 16-byte Folded Spill
	scratch_store_dwordx4 off, v[16:19], off offset:1976 ; 16-byte Folded Spill
	scratch_store_dwordx2 off, v[92:93], off offset:2364 ; 8-byte Folded Spill
	scratch_store_dwordx4 off, v[20:23], off offset:1992 ; 16-byte Folded Spill
	scratch_store_dwordx2 off, v[90:91], off offset:2344 ; 8-byte Folded Spill
	scratch_store_dwordx4 off, v[24:27], off offset:2008 ; 16-byte Folded Spill
	;; [unrolled: 2-line block ×7, first 2 shown]
	scratch_store_dwordx4 off, v[80:83], off offset:2256 ; 16-byte Folded Spill
	scratch_store_dwordx4 off, v[48:51], off offset:2104 ; 16-byte Folded Spill
	scratch_store_dwordx2 off, v[94:95], off offset:2384 ; 8-byte Folded Spill
	scratch_load_dwordx2 v[0:1], off, off offset:536
	scratch_load_dwordx4 v[2:5], off, off offset:572
	scratch_load_dwordx4 v[6:9], off, off offset:588
	scratch_load_dwordx4 v[10:13], off, off offset:540
	v_mov_b32_e32 v26, 0
	s_waitcnt vmcnt(2)
	v_mov_b32_e32 v1, v5
	s_waitcnt vmcnt(0)
	v_mov_b32_e32 v13, v8
	scratch_store_dwordx4 off, v[2:5], off offset:2412 ; 16-byte Folded Spill
	scratch_store_dwordx2 off, v[0:1], off offset:2404 ; 8-byte Folded Spill
	scratch_store_dwordx4 off, v[10:13], off offset:2444 ; 16-byte Folded Spill
	scratch_load_dwordx2 v[0:1], off, off offset:616
	s_nop 0
	scratch_load_dwordx3 v[2:4], off, off offset:604
	s_waitcnt vmcnt(0)
	scratch_store_dwordx3 off, v[2:4], off offset:2468 ; 12-byte Folded Spill
	scratch_load_dwordx4 v[2:5], off, off offset:652
	s_nop 0
	scratch_load_dwordx4 v[10:13], off, off offset:668
	s_waitcnt vmcnt(1)
	v_mov_b32_e32 v1, v5
	scratch_store_dwordx4 off, v[2:5], off offset:2480 ; 16-byte Folded Spill
	scratch_store_dwordx2 off, v[0:1], off offset:2460 ; 8-byte Folded Spill
	scratch_load_dwordx2 v[4:5], off, off offset:632
	s_nop 0
	scratch_load_dwordx3 v[0:2], off, off offset:620
	s_waitcnt vmcnt(1)
	v_mov_b32_e32 v5, v13
	scratch_store_dwordx2 off, v[4:5], off offset:2512 ; 8-byte Folded Spill
	s_waitcnt vmcnt(1)
	scratch_store_dwordx3 off, v[0:2], off offset:2520 ; 12-byte Folded Spill
	s_nop 1
	v_mov_b32_e32 v0, v10
	v_mov_b32_e32 v1, v11
	;; [unrolled: 1-line block ×3, first 2 shown]
	scratch_store_dwordx4 off, v[0:3], off offset:2496 ; 16-byte Folded Spill
	scratch_load_dwordx4 v[2:5], off, off offset:684
	s_nop 0
	scratch_load_dwordx4 v[10:13], off, off offset:636
	s_waitcnt vmcnt(0)
	v_mov_b32_e32 v13, v4
	scratch_store_dwordx4 off, v[10:13], off offset:2548 ; 16-byte Folded Spill
	scratch_load_dwordx2 v[0:1], off, off offset:712
	s_nop 0
	scratch_load_dwordx3 v[10:12], off, off offset:716
	s_waitcnt vmcnt(0)
	scratch_store_dwordx3 off, v[10:12], off offset:2572 ; 12-byte Folded Spill
	scratch_load_dwordx4 v[10:13], off, off offset:748
	s_waitcnt vmcnt(0)
	v_mov_b32_e32 v1, v13
	scratch_store_dwordx4 off, v[10:13], off offset:2584 ; 16-byte Folded Spill
	scratch_store_dwordx2 off, v[0:1], off offset:2564 ; 8-byte Folded Spill
	scratch_load_dwordx2 v[0:1], off, off offset:728
	s_nop 0
	scratch_load_dwordx4 v[10:13], off, off offset:764
	scratch_load_dwordx4 v[14:17], off, off offset:780
	;; [unrolled: 1-line block ×3, first 2 shown]
	s_waitcnt vmcnt(2)
	v_mov_b32_e32 v1, v13
	s_waitcnt vmcnt(0)
	v_mov_b32_e32 v21, v16
	scratch_store_dwordx4 off, v[10:13], off offset:2608 ; 16-byte Folded Spill
	scratch_store_dwordx2 off, v[0:1], off offset:2600 ; 8-byte Folded Spill
	scratch_store_dwordx4 off, v[18:21], off offset:2640 ; 16-byte Folded Spill
	scratch_load_dwordx2 v[0:1], off, off offset:808
	s_nop 0
	scratch_load_dwordx3 v[10:12], off, off offset:796
	s_waitcnt vmcnt(0)
	scratch_store_dwordx3 off, v[10:12], off offset:2664 ; 12-byte Folded Spill
	scratch_load_dwordx4 v[10:13], off, off offset:844
	s_nop 0
	scratch_load_dwordx4 v[18:21], off, off offset:860
	s_waitcnt vmcnt(1)
	v_mov_b32_e32 v1, v13
	scratch_store_dwordx4 off, v[10:13], off offset:2676 ; 16-byte Folded Spill
	scratch_store_dwordx2 off, v[0:1], off offset:2656 ; 8-byte Folded Spill
	scratch_load_dwordx2 v[0:1], off, off offset:824
	s_nop 0
	scratch_load_dwordx3 v[10:12], off, off offset:812
	s_waitcnt vmcnt(1)
	v_mov_b32_e32 v1, v21
	scratch_store_dwordx2 off, v[0:1], off offset:2708 ; 8-byte Folded Spill
	s_waitcnt vmcnt(1)
	scratch_store_dwordx3 off, v[10:12], off offset:2716 ; 12-byte Folded Spill
	v_mov_b64_e32 v[0:1], v[6:7]
	s_nop 0
	v_mov_b32_e32 v10, v18
	v_mov_b32_e32 v11, v19
	;; [unrolled: 1-line block ×3, first 2 shown]
	scratch_store_dwordx4 off, v[10:13], off offset:2692 ; 16-byte Folded Spill
	scratch_load_dwordx4 v[10:13], off, off offset:876
	s_nop 0
	scratch_load_dwordx4 v[18:21], off, off offset:828
	scratch_load_dwordx2 v[6:7], off, off offset:648
	s_waitcnt vmcnt(1)
	v_mov_b32_e32 v21, v12
	scratch_store_dwordx4 off, v[0:3], off offset:2428 ; 16-byte Folded Spill
	scratch_store_dwordx4 off, v[18:21], off offset:2744 ; 16-byte Folded Spill
	scratch_load_dwordx2 v[18:19], off, off offset:552
	v_mov_b64_e32 v[0:1], v[2:3]
	scratch_store_dwordx4 off, v[0:3], off offset:2532 ; 16-byte Folded Spill
	scratch_load_dwordx2 v[2:3], off, off offset:744
	s_waitcnt vmcnt(2)
	v_mov_b32_e32 v19, v9
	v_mov_b64_e32 v[0:1], v[14:15]
	v_mov_b32_e32 v7, v5
	scratch_store_dwordx2 off, v[6:7], off offset:2768 ; 8-byte Folded Spill
	scratch_store_dwordx2 off, v[18:19], off offset:2760 ; 8-byte Folded Spill
	s_waitcnt vmcnt(2)
	scratch_store_dwordx4 off, v[0:3], off offset:2624 ; 16-byte Folded Spill
	s_nop 1
	v_mov_b32_e32 v3, v17
	scratch_store_dwordx2 off, v[2:3], off offset:2776 ; 8-byte Folded Spill
	scratch_load_dwordx2 v[2:3], off, off offset:840
	v_mov_b64_e32 v[0:1], v[10:11]
	s_waitcnt vmcnt(0)
	scratch_store_dwordx4 off, v[0:3], off offset:2728 ; 16-byte Folded Spill
	s_nop 1
	v_mov_b32_e32 v3, v13
	scratch_store_dwordx2 off, v[2:3], off offset:2784 ; 8-byte Folded Spill
	scratch_load_dwordx2 v[0:1], off, off offset:904
	s_nop 0
	scratch_load_dwordx3 v[2:4], off, off offset:908
	s_waitcnt vmcnt(0)
	scratch_store_dwordx3 off, v[2:4], off offset:2800 ; 12-byte Folded Spill
	scratch_load_dwordx4 v[2:5], off, off offset:940
	s_waitcnt vmcnt(0)
	v_mov_b32_e32 v1, v5
	scratch_store_dwordx4 off, v[2:5], off offset:2812 ; 16-byte Folded Spill
	scratch_store_dwordx2 off, v[0:1], off offset:2792 ; 8-byte Folded Spill
	scratch_load_dwordx2 v[0:1], off, off offset:920
	s_nop 0
	scratch_load_dwordx4 v[2:5], off, off offset:956
	scratch_load_dwordx4 v[6:9], off, off offset:972
	;; [unrolled: 1-line block ×3, first 2 shown]
	s_waitcnt vmcnt(2)
	v_mov_b32_e32 v1, v5
	s_waitcnt vmcnt(0)
	v_mov_b32_e32 v13, v8
	scratch_store_dwordx4 off, v[2:5], off offset:2836 ; 16-byte Folded Spill
	scratch_store_dwordx2 off, v[0:1], off offset:2828 ; 8-byte Folded Spill
	scratch_store_dwordx4 off, v[10:13], off offset:2868 ; 16-byte Folded Spill
	scratch_load_dwordx2 v[0:1], off, off offset:1000
	s_nop 0
	scratch_load_dwordx3 v[2:4], off, off offset:988
	s_waitcnt vmcnt(0)
	scratch_store_dwordx3 off, v[2:4], off offset:2892 ; 12-byte Folded Spill
	scratch_load_dwordx4 v[2:5], off, off offset:1036
	s_nop 0
	scratch_load_dwordx4 v[10:13], off, off offset:1052
	s_waitcnt vmcnt(1)
	v_mov_b32_e32 v1, v5
	scratch_store_dwordx4 off, v[2:5], off offset:2904 ; 16-byte Folded Spill
	scratch_store_dwordx2 off, v[0:1], off offset:2884 ; 8-byte Folded Spill
	scratch_load_dwordx2 v[4:5], off, off offset:1016
	s_nop 0
	scratch_load_dwordx3 v[0:2], off, off offset:1004
	s_waitcnt vmcnt(1)
	v_mov_b32_e32 v5, v13
	scratch_store_dwordx2 off, v[4:5], off offset:2936 ; 8-byte Folded Spill
	s_waitcnt vmcnt(1)
	scratch_store_dwordx3 off, v[0:2], off offset:2944 ; 12-byte Folded Spill
	s_nop 1
	v_mov_b32_e32 v0, v10
	v_mov_b32_e32 v1, v11
	;; [unrolled: 1-line block ×3, first 2 shown]
	scratch_store_dwordx4 off, v[0:3], off offset:2920 ; 16-byte Folded Spill
	scratch_load_dwordx4 v[2:5], off, off offset:1068
	s_nop 0
	scratch_load_dwordx4 v[10:13], off, off offset:1020
	s_waitcnt vmcnt(0)
	v_mov_b32_e32 v13, v4
	scratch_store_dwordx4 off, v[10:13], off offset:2972 ; 16-byte Folded Spill
	scratch_load_dwordx2 v[0:1], off, off offset:1096
	s_nop 0
	scratch_load_dwordx3 v[10:12], off, off offset:1100
	s_waitcnt vmcnt(0)
	scratch_store_dwordx3 off, v[10:12], off offset:2996 ; 12-byte Folded Spill
	scratch_load_dwordx4 v[10:13], off, off offset:1132
	s_waitcnt vmcnt(0)
	v_mov_b32_e32 v1, v13
	scratch_store_dwordx4 off, v[10:13], off offset:3008 ; 16-byte Folded Spill
	scratch_store_dwordx2 off, v[0:1], off offset:2988 ; 8-byte Folded Spill
	scratch_load_dwordx2 v[0:1], off, off offset:1112
	s_nop 0
	scratch_load_dwordx4 v[10:13], off, off offset:1148
	scratch_load_dwordx4 v[14:17], off, off offset:1164
	;; [unrolled: 1-line block ×3, first 2 shown]
	s_waitcnt vmcnt(2)
	v_mov_b32_e32 v1, v13
	s_waitcnt vmcnt(0)
	v_mov_b32_e32 v21, v16
	scratch_store_dwordx4 off, v[10:13], off offset:3032 ; 16-byte Folded Spill
	scratch_store_dwordx2 off, v[0:1], off offset:3024 ; 8-byte Folded Spill
	scratch_store_dwordx4 off, v[18:21], off offset:3064 ; 16-byte Folded Spill
	scratch_load_dwordx2 v[0:1], off, off offset:1192
	s_nop 0
	scratch_load_dwordx3 v[10:12], off, off offset:1180
	s_waitcnt vmcnt(0)
	scratch_store_dwordx3 off, v[10:12], off offset:3088 ; 12-byte Folded Spill
	scratch_load_dwordx4 v[10:13], off, off offset:1228
	s_nop 0
	scratch_load_dwordx4 v[18:21], off, off offset:1244
	s_waitcnt vmcnt(1)
	v_mov_b32_e32 v1, v13
	scratch_store_dwordx4 off, v[10:13], off offset:3100 ; 16-byte Folded Spill
	scratch_store_dwordx2 off, v[0:1], off offset:3080 ; 8-byte Folded Spill
	scratch_load_dwordx2 v[0:1], off, off offset:1208
	s_nop 0
	scratch_load_dwordx3 v[10:12], off, off offset:1196
	s_waitcnt vmcnt(1)
	v_mov_b32_e32 v1, v21
	scratch_store_dwordx2 off, v[0:1], off offset:3132 ; 8-byte Folded Spill
	s_waitcnt vmcnt(1)
	scratch_store_dwordx3 off, v[10:12], off offset:3140 ; 12-byte Folded Spill
	v_mov_b64_e32 v[0:1], v[6:7]
	s_nop 0
	v_mov_b32_e32 v10, v18
	v_mov_b32_e32 v11, v19
	;; [unrolled: 1-line block ×3, first 2 shown]
	scratch_store_dwordx4 off, v[10:13], off offset:3116 ; 16-byte Folded Spill
	scratch_load_dwordx4 v[10:13], off, off offset:1260
	s_nop 0
	scratch_load_dwordx4 v[18:21], off, off offset:1212
	scratch_load_dwordx2 v[6:7], off, off offset:1032
	s_waitcnt vmcnt(1)
	v_mov_b32_e32 v21, v12
	scratch_store_dwordx4 off, v[0:3], off offset:2852 ; 16-byte Folded Spill
	scratch_store_dwordx4 off, v[18:21], off offset:3168 ; 16-byte Folded Spill
	scratch_load_dwordx2 v[18:19], off, off offset:936
	v_mov_b64_e32 v[0:1], v[2:3]
	scratch_store_dwordx4 off, v[0:3], off offset:2956 ; 16-byte Folded Spill
	scratch_load_dwordx2 v[2:3], off, off offset:1128
	s_waitcnt vmcnt(2)
	v_mov_b32_e32 v19, v9
	v_mov_b64_e32 v[0:1], v[14:15]
	v_mov_b32_e32 v7, v5
	scratch_store_dwordx2 off, v[6:7], off offset:3192 ; 8-byte Folded Spill
	scratch_store_dwordx2 off, v[18:19], off offset:3184 ; 8-byte Folded Spill
	s_waitcnt vmcnt(2)
	scratch_store_dwordx4 off, v[0:3], off offset:3048 ; 16-byte Folded Spill
	s_nop 1
	v_mov_b32_e32 v3, v17
	scratch_store_dwordx2 off, v[2:3], off offset:3200 ; 8-byte Folded Spill
	scratch_load_dwordx2 v[2:3], off, off offset:1224
	v_mov_b64_e32 v[0:1], v[10:11]
	s_waitcnt vmcnt(0)
	scratch_store_dwordx4 off, v[0:3], off offset:3152 ; 16-byte Folded Spill
	scratch_load_dword v0, off, off offset:1324
	s_nop 0
	v_mov_b32_e32 v3, v13
	scratch_store_dwordx2 off, v[2:3], off offset:3208 ; 8-byte Folded Spill
	s_waitcnt vmcnt(1)
	scratch_store_dword off, v0, off offset:3216 ; 4-byte Folded Spill
	scratch_load_dwordx2 v[36:37], off, off offset:1304
	s_nop 0
	scratch_load_dwordx2 v[0:1], off, off offset:1320
	s_waitcnt vmcnt(0)
	scratch_store_dwordx2 off, v[0:1], off offset:1800 ; 8-byte Folded Spill
	scratch_load_dwordx2 v[0:1], off, off offset:1288
	s_waitcnt vmcnt(0)
	scratch_store_dwordx2 off, v[0:1], off offset:1808 ; 8-byte Folded Spill
	scratch_load_dwordx3 v[0:2], off, off offset:700
	s_waitcnt vmcnt(0)
	scratch_store_dwordx3 off, v[0:2], off offset:3220 ; 12-byte Folded Spill
	scratch_load_dwordx3 v[0:2], off, off offset:892
	s_waitcnt vmcnt(0)
	scratch_store_dwordx3 off, v[0:2], off offset:3232 ; 12-byte Folded Spill
	scratch_load_dwordx3 v[0:2], off, off offset:1084
	s_waitcnt vmcnt(0)
	scratch_store_dwordx3 off, v[0:2], off offset:3244 ; 12-byte Folded Spill
	scratch_load_dwordx3 v[0:2], off, off offset:1276
	s_waitcnt vmcnt(0)
	scratch_store_dwordx3 off, v[0:2], off offset:3256 ; 12-byte Folded Spill
	scratch_load_dwordx3 v[0:2], off, off offset:1292
	s_waitcnt vmcnt(0)
	scratch_store_dwordx3 off, v[0:2], off offset:3268 ; 12-byte Folded Spill
	scratch_load_dwordx4 v[116:119], off, off offset:1308
	scratch_load_dwordx4 v[88:91], off, off
	scratch_load_dwordx4 v[84:87], off, off offset:16
	scratch_load_dwordx4 v[80:83], off, off offset:32
	;; [unrolled: 1-line block ×7, first 2 shown]
.LBB5_27:                               ; =>This Loop Header: Depth=1
                                        ;     Child Loop BB5_28 Depth 2
	s_lshl_b64 s[0:1], s[26:27], 4
	s_add_u32 s0, s18, s0
	s_addc_u32 s1, s19, s1
	scratch_load_dwordx4 v[0:3], off, off offset:1328
	scratch_load_dwordx4 v[4:7], off, off offset:1344
	scratch_load_dwordx2 v[18:19], off, off offset:1808 ; 8-byte Folded Reload
	global_load_dwordx4 v[92:95], v26, s[0:1]
	s_mov_b32 s40, s29
	s_mov_b64 s[30:31], s[24:25]
	s_waitcnt vmcnt(1)
	v_mov_b32_e32 v19, v2
	v_mov_b32_e32 v37, v6
	scratch_store_dwordx2 off, v[36:37], off offset:1816 ; 8-byte Folded Spill
	s_waitcnt vmcnt(1)
	v_fma_f32 v9, v92, v0, v3
	v_fmac_f32_e32 v9, v93, v1
	scratch_load_dwordx4 v[120:123], off, off offset:1420
	scratch_load_dwordx4 v[108:111], off, off offset:1436
	;; [unrolled: 1-line block ×5, first 2 shown]
	scratch_load_dwordx3 v[10:12], off, off offset:1468
	v_fma_f32 v13, v92, v4, v7
	v_fmac_f32_e32 v13, v93, v5
	scratch_load_dwordx4 v[4:7], off, off offset:1404
	scratch_load_dwordx2 v[56:57], off, off offset:1416
	scratch_load_dwordx2 v[60:61], off, off offset:1400
	scratch_load_dwordx3 v[36:38], off, off offset:1388
	s_waitcnt vmcnt(7)
	v_mov_b32_e32 v107, v123
	v_fma_f32 v53, v92, v121, v108
	v_fmac_f32_e32 v53, v93, v122
	v_mov_b64_e32 v[122:123], v[18:19]
	s_waitcnt vmcnt(3)
	v_mov_b32_e32 v7, v16
	s_waitcnt vmcnt(2)
	v_mov_b32_e32 v57, v17
	v_fma_f32 v55, v92, v15, v10
	v_fma_f32 v59, v92, v109, v14
	scratch_load_dwordx2 v[62:63], off, off offset:1480
	scratch_load_dwordx3 v[40:42], off, off offset:1484
	scratch_load_dwordx4 v[14:17], off, off offset:1516
	scratch_load_dwordx4 v[24:27], off, off offset:1532
	scratch_load_dwordx2 v[64:65], off, off offset:1512
	scratch_load_dwordx4 v[28:31], off, off offset:1548
	scratch_load_dwordx3 v[44:46], off, off offset:1564
	s_waitcnt vmcnt(7)
	v_fma_f32 v52, v92, v104, v36
	v_fmac_f32_e32 v52, v93, v105
	v_fma_f32 v54, v92, v5, v120
	v_fma_f32 v58, v92, v37, v4
	v_pk_fma_f32 v[4:5], v[94:95], v[106:107], v[52:53] op_sel_hi:[0,1,1]
	scratch_store_dwordx2 off, v[4:5], off offset:1824 ; 8-byte Folded Spill
	v_fmac_f32_e32 v58, v93, v38
	v_mov_b32_e32 v61, v111
	v_fmac_f32_e32 v59, v93, v110
	v_fmac_f32_e32 v3, v92, v0
	v_mov_b32_e32 v119, v1
	s_waitcnt vmcnt(6)
	v_fma_f32 v38, v92, v11, v40
	s_waitcnt vmcnt(5)
	v_mov_b32_e32 v63, v17
	s_waitcnt vmcnt(4)
	v_fma_f32 v39, v92, v15, v24
	v_fmac_f32_e32 v39, v93, v16
	scratch_load_dwordx4 v[16:19], off, off offset:1500
	s_waitcnt vmcnt(2)
	v_fma_f32 v15, v92, v29, v44
	v_fma_f32 v25, v92, v25, v28
	scratch_load_dwordx2 v[28:29], off, off offset:1496
	s_waitcnt vmcnt(1)
	v_mov_b32_e32 v19, v30
	s_waitcnt vmcnt(0)
	v_mov_b32_e32 v29, v27
	v_fmac_f32_e32 v25, v93, v26
	v_pk_fma_f32 v[26:27], v[92:93], v[6:7], v[54:55] op_sel:[1,0,0]
	v_fmac_f32_e32 v38, v93, v12
	v_mov_b32_e32 v65, v31
	v_pk_fma_f32 v[0:1], v[94:95], v[56:57], v[26:27] op_sel_hi:[0,1,1]
	v_mov_b64_e32 v[52:53], v[116:117]
	v_mov_b64_e32 v[54:55], v[118:119]
	v_fma_f32 v14, v92, v17, v14
	v_fma_f32 v24, v92, v41, v16
	v_pk_fma_f32 v[18:19], v[92:93], v[18:19], v[14:15] op_sel:[1,0,0]
	scratch_load_dwordx4 v[4:7], off, off offset:1628
	scratch_load_dwordx4 v[14:17], off, off offset:1612
	scratch_load_dwordx2 v[36:37], off, off offset:1592
	scratch_load_dwordx3 v[10:12], off, off offset:1580
	v_fmac_f32_e32 v24, v93, v42
	scratch_load_dwordx2 v[42:43], off, off offset:1576
	s_waitcnt vmcnt(4)
	v_mov_b32_e32 v30, v5
	s_waitcnt vmcnt(3)
	v_fmac_f32_e32 v4, v92, v15
	v_fmac_f32_e32 v4, v93, v16
	v_mov_b32_e32 v31, v6
	s_waitcnt vmcnt(2)
	v_mov_b32_e32 v37, v7
	v_mov_b32_e32 v41, v4
	scratch_load_dwordx4 v[4:7], off, off offset:1596
	s_waitcnt vmcnt(2)
	v_fma_f32 v40, v92, v45, v10
	s_waitcnt vmcnt(1)
	v_mov_b32_e32 v43, v17
	v_fmac_f32_e32 v40, v93, v46
	s_waitcnt vmcnt(0)
	v_fma_f32 v44, v92, v5, v14
	scratch_load_dword v45, off, off offset:1660
	scratch_load_dwordx4 v[14:17], off, off offset:1644
	v_fma_f32 v4, v92, v11, v4
	v_pk_mul_f32 v[10:11], v[92:93], v[30:31]
	scratch_load_dwordx2 v[30:31], off, off offset:1608
	scratch_load_dwordx2 v[100:101], off, off offset:1800 ; 8-byte Folded Reload
	v_fmac_f32_e32 v4, v93, v12
	scratch_store_dwordx2 off, v[0:1], off offset:1888 ; 8-byte Folded Spill
	v_pk_fma_f32 v[0:1], v[94:95], v[64:65], v[18:19] op_sel_hi:[0,1,1]
	scratch_store_dwordx2 off, v[0:1], off offset:1856 ; 8-byte Folded Spill
	s_waitcnt vmcnt(2)
	v_mov_b32_e32 v101, v2
	v_add_f32_e32 v5, v14, v10
	v_add_f32_e32 v5, v5, v11
	v_pk_fma_f32 v[10:11], v[94:95], v[60:61], v[58:59] op_sel_hi:[0,1,1]
	v_mov_b32_e32 v7, v16
	v_fmac_f32_e32 v45, v92, v15
	scratch_store_dwordx2 off, v[10:11], off offset:1832 ; 8-byte Folded Spill
	v_pk_fma_f32 v[10:11], v[94:95], v[62:63], v[38:39] op_sel_hi:[0,1,1]
	v_pk_fma_f32 v[6:7], v[92:93], v[6:7], v[44:45] op_sel:[1,0,0]
	v_mov_b32_e32 v31, v17
	scratch_store_dwordx2 off, v[10:11], off offset:1872 ; 8-byte Folded Spill
	v_pk_fma_f32 v[10:11], v[94:95], v[28:29], v[24:25] op_sel_hi:[0,1,1]
	scratch_store_dwordx2 off, v[10:11], off offset:1840 ; 8-byte Folded Spill
	v_pk_fma_f32 v[10:11], v[94:95], v[42:43], v[40:41] op_sel_hi:[0,1,1]
	v_pk_fma_f32 v[4:5], v[94:95], v[36:37], v[4:5] op_sel_hi:[0,1,1]
	;; [unrolled: 1-line block ×3, first 2 shown]
	scratch_store_dwordx2 off, v[10:11], off offset:1848 ; 8-byte Folded Spill
	scratch_store_dwordx2 off, v[4:5], off offset:1880 ; 8-byte Folded Spill
	;; [unrolled: 1-line block ×3, first 2 shown]
	v_mov_b32_e32 v11, v3
	scratch_load_dwordx4 v[26:29], off, off offset:2256 ; 16-byte Folded Reload
	scratch_load_dwordx3 v[2:4], off, off offset:2272 ; 12-byte Folded Reload
	scratch_load_dwordx4 v[104:107], off, off offset:2136 ; 16-byte Folded Reload
	v_ashrrev_i32_e32 v15, 31, v95
	v_mov_b32_e32 v14, v95
	scratch_load_dwordx4 v[108:111], off, off offset:2160 ; 16-byte Folded Reload
	scratch_load_dwordx4 v[118:121], off, off offset:2196 ; 16-byte Folded Reload
	;; [unrolled: 1-line block ×3, first 2 shown]
	s_waitcnt vmcnt(4)
	v_fma_f32 v0, v92, v26, v2
	s_waitcnt vmcnt(3)
	v_fma_f32 v2, v92, v3, v104
	v_fmac_f32_e32 v2, v93, v4
	scratch_load_dwordx4 v[4:7], off, off offset:2072 ; 16-byte Folded Reload
	v_fmac_f32_e32 v0, v93, v27
	s_waitcnt vmcnt(0)
	v_mov_b32_e32 v18, v6
	v_mov_b32_e32 v17, v5
	;; [unrolled: 1-line block ×3, first 2 shown]
	scratch_load_dwordx4 v[4:7], off, off offset:2088 ; 16-byte Folded Reload
	s_waitcnt vmcnt(0)
	v_mov_b32_e32 v26, v6
	v_mov_b32_e32 v25, v5
	;; [unrolled: 1-line block ×3, first 2 shown]
	scratch_load_dwordx4 v[4:7], off, off offset:1912 ; 16-byte Folded Reload
	v_fma_f32 v1, v92, v25, v16
	v_fmac_f32_e32 v1, v93, v26
	v_pk_fma_f32 v[0:1], v[94:95], v[28:29], v[0:1] op_sel_hi:[0,1,1]
	scratch_store_dwordx2 off, v[0:1], off offset:1904 ; 8-byte Folded Spill
	scratch_load_dwordx3 v[6:8], off, off offset:2312 ; 12-byte Folded Reload
	s_waitcnt vmcnt(2)
	v_mov_b64_e32 v[0:1], v[4:5]
	scratch_load_dwordx2 v[4:5], off, off offset:2152 ; 8-byte Folded Reload
	v_fma_f32 v3, v92, v17, v0
	v_fmac_f32_e32 v3, v93, v18
	v_fma_f32 v0, v92, v105, v24
	s_waitcnt vmcnt(0)
	v_pk_fma_f32 v[2:3], v[94:95], v[4:5], v[2:3] op_sel_hi:[0,1,1]
	scratch_store_dwordx2 off, v[2:3], off offset:1896 ; 8-byte Folded Spill
	scratch_load_dwordx3 v[2:4], off, off offset:2292 ; 12-byte Folded Reload
	s_waitcnt vmcnt(0)
	v_fma_f32 v1, v92, v1, v2
	scratch_store_dwordx2 off, v[0:1], off offset:1800 ; 8-byte Folded Spill
	v_fma_f32 v0, v92, v3, v6
	v_fmac_f32_e32 v0, v93, v4
	v_fma_f32 v2, v92, v7, v108
	scratch_load_dwordx4 v[4:7], off, off offset:2040 ; 16-byte Folded Reload
	v_fmac_f32_e32 v2, v93, v8
	s_waitcnt vmcnt(0)
	v_mov_b32_e32 v26, v6
	v_mov_b32_e32 v25, v5
	;; [unrolled: 1-line block ×3, first 2 shown]
	scratch_load_dwordx4 v[4:7], off, off offset:2056 ; 16-byte Folded Reload
	s_waitcnt vmcnt(0)
	v_mov_b32_e32 v30, v6
	v_mov_b32_e32 v29, v5
	;; [unrolled: 1-line block ×3, first 2 shown]
	scratch_load_dwordx2 v[4:5], off, off offset:2284 ; 8-byte Folded Reload
	v_fma_f32 v1, v92, v29, v24
	v_fmac_f32_e32 v1, v93, v30
	v_fma_f32 v108, v92, v109, v28
	s_waitcnt vmcnt(0)
	v_pk_fma_f32 v[0:1], v[94:95], v[4:5], v[0:1] op_sel_hi:[0,1,1]
	scratch_load_dwordx4 v[4:7], off, off offset:1928 ; 16-byte Folded Reload
	s_nop 0
	scratch_store_dwordx2 off, v[0:1], off offset:1664 ; 8-byte Folded Spill
	s_waitcnt vmcnt(1)
	v_mov_b64_e32 v[0:1], v[4:5]
	scratch_load_dwordx2 v[4:5], off, off offset:2304 ; 8-byte Folded Reload
	v_fma_f32 v3, v92, v25, v0
	v_fmac_f32_e32 v3, v93, v26
	scratch_load_dwordx4 v[24:27], off, off offset:2008 ; 16-byte Folded Reload
	s_waitcnt vmcnt(1)
	v_pk_fma_f32 v[2:3], v[94:95], v[4:5], v[2:3] op_sel_hi:[0,1,1]
	scratch_load_dwordx3 v[4:6], off, off offset:2184 ; 12-byte Folded Reload
	s_waitcnt vmcnt(0)
	v_fma_f32 v109, v92, v1, v4
	scratch_store_dwordx2 off, v[2:3], off offset:1672 ; 8-byte Folded Spill
	scratch_load_dwordx3 v[0:2], off, off offset:2332 ; 12-byte Folded Reload
	s_waitcnt vmcnt(0)
	v_fma_f32 v0, v92, v5, v0
	v_fmac_f32_e32 v0, v93, v6
	v_mov_b32_e32 v6, v24
	v_mov_b32_e32 v7, v25
	;; [unrolled: 1-line block ×3, first 2 shown]
	scratch_load_dwordx4 v[24:27], off, off offset:2024 ; 16-byte Folded Reload
	v_fma_f32 v4, v92, v1, v118
	v_fmac_f32_e32 v4, v93, v2
	scratch_load_dwordx2 v[2:3], off, off offset:2324 ; 8-byte Folded Reload
	s_waitcnt vmcnt(1)
	v_mov_b32_e32 v30, v26
	v_mov_b32_e32 v29, v25
	;; [unrolled: 1-line block ×3, first 2 shown]
	scratch_load_dwordx4 v[24:27], off, off offset:1944 ; 16-byte Folded Reload
	v_fma_f32 v1, v92, v29, v6
	v_fmac_f32_e32 v1, v93, v30
	s_waitcnt vmcnt(1)
	v_pk_fma_f32 v[0:1], v[94:95], v[2:3], v[0:1] op_sel_hi:[0,1,1]
	scratch_store_dwordx2 off, v[0:1], off offset:1680 ; 8-byte Folded Spill
	s_waitcnt vmcnt(1)
	v_mov_b64_e32 v[0:1], v[24:25]
	v_fma_f32 v5, v92, v7, v0
	scratch_load_dwordx2 v[6:7], off, off offset:2212 ; 8-byte Folded Reload
	v_fmac_f32_e32 v5, v93, v8
	v_fma_f32 v0, v92, v119, v28
	scratch_load_dwordx3 v[26:28], off, off offset:2372 ; 12-byte Folded Reload
	s_waitcnt vmcnt(1)
	v_pk_fma_f32 v[2:3], v[94:95], v[6:7], v[4:5] op_sel_hi:[0,1,1]
	scratch_load_dwordx3 v[4:6], off, off offset:2352 ; 12-byte Folded Reload
	s_waitcnt vmcnt(0)
	v_fma_f32 v1, v92, v1, v4
	v_fma_f32 v4, v92, v5, v26
	v_fmac_f32_e32 v4, v93, v6
	v_fma_f32 v6, v92, v27, v56
	v_fmac_f32_e32 v6, v93, v28
	scratch_load_dwordx4 v[26:29], off, off offset:1976 ; 16-byte Folded Reload
	v_pk_fma_f32 v[0:1], v[92:93], v[120:121], v[0:1] op_sel:[1,0,0]
	scratch_store_dwordx2 off, v[2:3], off offset:1688 ; 8-byte Folded Spill
	scratch_load_dwordx2 v[2:3], off, off offset:2344 ; 8-byte Folded Reload
	s_waitcnt vmcnt(2)
	v_mov_b32_e32 v40, v28
	v_mov_b32_e32 v39, v27
	;; [unrolled: 1-line block ×3, first 2 shown]
	scratch_load_dwordx4 v[26:29], off, off offset:1992 ; 16-byte Folded Reload
	s_waitcnt vmcnt(0)
	v_mov_b32_e32 v44, v28
	v_mov_b32_e32 v43, v27
	;; [unrolled: 1-line block ×3, first 2 shown]
	scratch_load_dwordx4 v[28:31], off, off offset:1960 ; 16-byte Folded Reload
	v_fma_f32 v5, v92, v43, v38
	v_fmac_f32_e32 v5, v93, v44
	v_pk_fma_f32 v[2:3], v[94:95], v[2:3], v[4:5] op_sel_hi:[0,1,1]
	scratch_store_dwordx2 off, v[2:3], off offset:1696 ; 8-byte Folded Spill
	scratch_load_dwordx2 v[2:3], off, off offset:2364 ; 8-byte Folded Reload
	v_fma_f32 v56, v92, v57, v42
	scratch_load_dwordx4 v[24:27], off, off offset:2444 ; 16-byte Folded Reload
	s_waitcnt vmcnt(3)
	v_mov_b64_e32 v[4:5], v[28:29]
	v_fma_f32 v7, v92, v39, v4
	v_fmac_f32_e32 v7, v93, v40
	scratch_load_dwordx3 v[38:40], off, off offset:2392 ; 12-byte Folded Reload
	s_waitcnt vmcnt(2)
	v_pk_fma_f32 v[2:3], v[94:95], v[2:3], v[6:7] op_sel_hi:[0,1,1]
	scratch_load_dwordx3 v[6:8], off, off offset:2244 ; 12-byte Folded Reload
	s_waitcnt vmcnt(0)
	v_fma_f32 v57, v92, v5, v6
	scratch_store_dwordx2 off, v[2:3], off offset:1704 ; 8-byte Folded Spill
	v_fma_f32 v6, v92, v39, v24
	v_fma_f32 v4, v92, v7, v38
	v_fmac_f32_e32 v6, v93, v40
	scratch_load_dwordx4 v[38:41], off, off offset:2104 ; 16-byte Folded Reload
	scratch_load_dwordx4 v[42:45], off, off offset:2412 ; 16-byte Folded Reload
	scratch_load_dwordx2 v[2:3], off, off offset:2384 ; 8-byte Folded Reload
	scratch_load_dwordx4 v[28:31], off, off offset:2548 ; 16-byte Folded Reload
	v_fmac_f32_e32 v4, v93, v8
	s_waitcnt vmcnt(3)
	v_fma_f32 v18, v92, v25, v38
	s_waitcnt vmcnt(2)
	v_fma_f32 v5, v92, v39, v42
	v_fmac_f32_e32 v5, v93, v40
	s_waitcnt vmcnt(1)
	v_pk_fma_f32 v[2:3], v[94:95], v[2:3], v[4:5] op_sel_hi:[0,1,1]
	scratch_store_dwordx2 off, v[2:3], off offset:1712 ; 8-byte Folded Spill
	scratch_load_dwordx4 v[2:5], off, off offset:2428 ; 16-byte Folded Reload
	s_nop 0
	scratch_load_dwordx3 v[36:38], off, off offset:3220 ; 12-byte Folded Reload
	s_waitcnt vmcnt(1)
	v_mov_b64_e32 v[4:5], v[2:3]
	scratch_load_dwordx2 v[2:3], off, off offset:2404 ; 8-byte Folded Reload
	v_fma_f32 v7, v92, v43, v4
	v_fmac_f32_e32 v7, v93, v44
	scratch_load_dwordx3 v[42:44], off, off offset:2520 ; 12-byte Folded Reload
	s_waitcnt vmcnt(1)
	v_pk_fma_f32 v[2:3], v[94:95], v[2:3], v[6:7] op_sel_hi:[0,1,1]
	scratch_load_dwordx3 v[6:8], off, off offset:2468 ; 12-byte Folded Reload
	s_nop 0
	scratch_store_dwordx2 off, v[2:3], off offset:1720 ; 8-byte Folded Spill
	scratch_load_dwordx2 v[2:3], off, off offset:2460 ; 8-byte Folded Reload
	s_waitcnt vmcnt(2)
	v_fma_f32 v19, v92, v5, v6
	v_fma_f32 v6, v92, v43, v28
	;; [unrolled: 1-line block ×3, first 2 shown]
	v_fmac_f32_e32 v6, v93, v44
	scratch_load_dwordx4 v[42:45], off, off offset:2480 ; 16-byte Folded Reload
	v_fmac_f32_e32 v4, v93, v8
	s_waitcnt vmcnt(0)
	v_mov_b32_e32 v62, v44
	v_mov_b32_e32 v61, v43
	v_mov_b32_e32 v60, v42
	scratch_load_dwordx4 v[42:45], off, off offset:2496 ; 16-byte Folded Reload
	v_fma_f32 v64, v92, v29, v60
	v_mov_b64_e32 v[28:29], v[100:101]
	s_waitcnt vmcnt(0)
	v_mov_b32_e32 v46, v44
	v_mov_b32_e32 v45, v43
	;; [unrolled: 1-line block ×3, first 2 shown]
	v_fma_f32 v5, v92, v61, v44
	v_fmac_f32_e32 v5, v93, v62
	v_pk_fma_f32 v[2:3], v[94:95], v[2:3], v[4:5] op_sel_hi:[0,1,1]
	scratch_store_dwordx2 off, v[2:3], off offset:1728 ; 8-byte Folded Spill
	scratch_load_dwordx4 v[2:5], off, off offset:2532 ; 16-byte Folded Reload
	s_waitcnt vmcnt(0)
	v_mov_b64_e32 v[4:5], v[2:3]
	scratch_load_dwordx2 v[2:3], off, off offset:2512 ; 8-byte Folded Reload
	scratch_load_dwordx4 v[40:43], off, off offset:2640 ; 16-byte Folded Reload
	v_fma_f32 v7, v92, v45, v4
	v_fmac_f32_e32 v7, v93, v46
	v_fma_f32 v65, v92, v5, v36
	s_waitcnt vmcnt(1)
	v_pk_fma_f32 v[2:3], v[94:95], v[2:3], v[6:7] op_sel_hi:[0,1,1]
	scratch_store_dwordx2 off, v[2:3], off offset:1736 ; 8-byte Folded Spill
	scratch_load_dwordx3 v[6:8], off, off offset:2572 ; 12-byte Folded Reload
	scratch_load_dwordx4 v[60:63], off, off offset:2584 ; 16-byte Folded Reload
	scratch_load_dwordx4 v[66:69], off, off offset:2608 ; 16-byte Folded Reload
	;; [unrolled: 1-line block ×3, first 2 shown]
	s_waitcnt vmcnt(3)
	v_fma_f32 v4, v92, v37, v6
	scratch_load_dwordx2 v[2:3], off, off offset:2564 ; 8-byte Folded Reload
	s_waitcnt vmcnt(2)
	v_fma_f32 v5, v92, v61, v66
	v_fmac_f32_e32 v4, v93, v38
	v_fmac_f32_e32 v5, v93, v62
	v_fma_f32 v6, v92, v7, v40
	scratch_load_dwordx3 v[38:40], off, off offset:2716 ; 12-byte Folded Reload
	v_fmac_f32_e32 v6, v93, v8
	v_fma_f32 v66, v92, v41, v60
	s_waitcnt vmcnt(1)
	v_pk_fma_f32 v[2:3], v[94:95], v[2:3], v[4:5] op_sel_hi:[0,1,1]
	scratch_store_dwordx2 off, v[2:3], off offset:1744 ; 8-byte Folded Spill
	scratch_load_dwordx4 v[2:5], off, off offset:2624 ; 16-byte Folded Reload
	s_waitcnt vmcnt(0)
	v_mov_b64_e32 v[4:5], v[2:3]
	scratch_load_dwordx2 v[2:3], off, off offset:2600 ; 8-byte Folded Reload
	v_fma_f32 v7, v92, v67, v4
	v_fmac_f32_e32 v7, v93, v68
	s_waitcnt vmcnt(0)
	v_pk_fma_f32 v[2:3], v[94:95], v[2:3], v[6:7] op_sel_hi:[0,1,1]
	scratch_load_dwordx3 v[6:8], off, off offset:2664 ; 12-byte Folded Reload
	s_waitcnt vmcnt(0)
	v_fma_f32 v67, v92, v5, v6
	scratch_store_dwordx2 off, v[2:3], off offset:1752 ; 8-byte Folded Spill
	v_fma_f32 v6, v92, v39, v44
	v_fma_f32 v4, v92, v7, v38
	v_fmac_f32_e32 v6, v93, v40
	scratch_load_dwordx4 v[38:41], off, off offset:2676 ; 16-byte Folded Reload
	scratch_load_dwordx4 v[60:63], off, off offset:2692 ; 16-byte Folded Reload
	scratch_load_dwordx2 v[2:3], off, off offset:2656 ; 8-byte Folded Reload
	scratch_load_dwordx4 v[68:71], off, off offset:2728 ; 16-byte Folded Reload
	v_fmac_f32_e32 v4, v93, v8
	s_waitcnt vmcnt(2)
	v_fma_f32 v5, v92, v39, v60
	v_fmac_f32_e32 v5, v93, v40
	s_waitcnt vmcnt(1)
	v_pk_fma_f32 v[2:3], v[94:95], v[2:3], v[4:5] op_sel_hi:[0,1,1]
	scratch_load_dwordx2 v[4:5], off, off offset:2708 ; 8-byte Folded Reload
	s_waitcnt vmcnt(1)
	v_mov_b64_e32 v[16:17], v[68:69]
	v_fma_f32 v7, v92, v61, v16
	v_fmac_f32_e32 v7, v93, v62
	scratch_load_dwordx4 v[60:63], off, off offset:2868 ; 16-byte Folded Reload
	v_fma_f32 v68, v92, v45, v38
	scratch_store_dwordx2 off, v[2:3], off offset:1760 ; 8-byte Folded Spill
	scratch_load_dwordx3 v[36:38], off, off offset:3232 ; 12-byte Folded Reload
	s_waitcnt vmcnt(3)
	v_pk_fma_f32 v[2:3], v[94:95], v[4:5], v[6:7] op_sel_hi:[0,1,1]
	scratch_load_dwordx3 v[6:8], off, off offset:2800 ; 12-byte Folded Reload
	s_waitcnt vmcnt(1)
	v_fma_f32 v69, v92, v17, v36
	scratch_store_dwordx2 off, v[2:3], off offset:1768 ; 8-byte Folded Spill
	s_waitcnt vmcnt(1)
	v_fma_f32 v4, v92, v37, v6
	v_fmac_f32_e32 v4, v93, v38
	scratch_load_dwordx4 v[38:41], off, off offset:2812 ; 16-byte Folded Reload
	scratch_load_dwordx4 v[96:99], off, off offset:2836 ; 16-byte Folded Reload
	scratch_load_dwordx2 v[16:17], off, off offset:2792 ; 8-byte Folded Reload
	scratch_load_dwordx4 v[100:103], off, off offset:2852 ; 16-byte Folded Reload
	v_fma_f32 v6, v92, v7, v60
	v_fmac_f32_e32 v6, v93, v8
	s_waitcnt vmcnt(3)
	v_fma_f32 v70, v92, v61, v38
	s_waitcnt vmcnt(2)
	v_fma_f32 v5, v92, v39, v96
	v_fmac_f32_e32 v5, v93, v40
	s_waitcnt vmcnt(1)
	v_pk_fma_f32 v[2:3], v[94:95], v[16:17], v[4:5] op_sel_hi:[0,1,1]
	scratch_load_dwordx2 v[4:5], off, off offset:2828 ; 8-byte Folded Reload
	s_waitcnt vmcnt(1)
	v_mov_b64_e32 v[16:17], v[100:101]
	v_fma_f32 v7, v92, v97, v16
	v_fmac_f32_e32 v7, v93, v98
	scratch_load_dwordx3 v[96:98], off, off offset:2944 ; 12-byte Folded Reload
	scratch_load_dwordx4 v[38:41], off, off offset:2972 ; 16-byte Folded Reload
	s_nop 0
	scratch_store_dwordx2 off, v[2:3], off offset:1776 ; 8-byte Folded Spill
	s_waitcnt vmcnt(3)
	v_pk_fma_f32 v[2:3], v[94:95], v[4:5], v[6:7] op_sel_hi:[0,1,1]
	scratch_load_dwordx3 v[4:6], off, off offset:2892 ; 12-byte Folded Reload
	s_waitcnt vmcnt(0)
	v_fma_f32 v71, v92, v17, v4
	v_fma_f32 v4, v92, v5, v96
	scratch_store_dwordx2 off, v[2:3], off offset:1784 ; 8-byte Folded Spill
	v_fmac_f32_e32 v4, v93, v6
	v_fma_f32 v6, v92, v97, v38
	v_fmac_f32_e32 v6, v93, v98
	scratch_load_dwordx4 v[96:99], off, off offset:2904 ; 16-byte Folded Reload
	scratch_load_dwordx4 v[102:105], off, off offset:2920 ; 16-byte Folded Reload
	scratch_load_dwordx2 v[16:17], off, off offset:2884 ; 8-byte Folded Reload
	scratch_load_dwordx4 v[116:119], off, off offset:2956 ; 16-byte Folded Reload
	scratch_load_dwordx3 v[36:38], off, off offset:3244 ; 12-byte Folded Reload
	s_waitcnt vmcnt(4)
	v_fma_f32 v96, v92, v39, v96
	s_waitcnt vmcnt(3)
	v_mov_b32_e32 v114, v104
	v_mov_b32_e32 v112, v102
	v_fma_f32 v5, v92, v97, v112
	v_fmac_f32_e32 v5, v93, v98
	s_waitcnt vmcnt(2)
	v_pk_fma_f32 v[2:3], v[94:95], v[16:17], v[4:5] op_sel_hi:[0,1,1]
	scratch_load_dwordx2 v[4:5], off, off offset:2936 ; 8-byte Folded Reload
	v_mov_b32_e32 v113, v103
	s_waitcnt vmcnt(2)
	v_mov_b64_e32 v[16:17], v[116:117]
	scratch_load_dwordx4 v[116:119], off, off offset:3064 ; 16-byte Folded Reload
	v_fma_f32 v7, v92, v113, v16
	scratch_store_dwordx2 off, v[2:3], off offset:1792 ; 8-byte Folded Spill
	v_fmac_f32_e32 v7, v93, v114
	s_waitcnt vmcnt(2)
	v_pk_fma_f32 v[60:61], v[94:95], v[4:5], v[6:7] op_sel_hi:[0,1,1]
	scratch_load_dwordx3 v[6:8], off, off offset:2996 ; 12-byte Folded Reload
	scratch_load_dwordx4 v[112:115], off, off offset:3008 ; 16-byte Folded Reload
	scratch_load_dwordx4 v[98:101], off, off offset:3032 ; 16-byte Folded Reload
	v_fma_f32 v97, v92, v17, v36
	scratch_load_dwordx2 v[16:17], off, off offset:2988 ; 8-byte Folded Reload
	s_waitcnt vmcnt(3)
	v_fma_f32 v4, v92, v37, v6
	s_waitcnt vmcnt(1)
	v_fma_f32 v5, v92, v113, v98
	v_fmac_f32_e32 v4, v93, v38
	v_fmac_f32_e32 v5, v93, v114
	v_fma_f32 v98, v92, v117, v112
	scratch_load_dwordx4 v[112:115], off, off offset:3100 ; 16-byte Folded Reload
	s_waitcnt vmcnt(1)
	v_pk_fma_f32 v[24:25], v[94:95], v[16:17], v[4:5] op_sel_hi:[0,1,1]
	scratch_load_dwordx4 v[2:5], off, off offset:3048 ; 16-byte Folded Reload
	scratch_load_dwordx4 v[36:39], off, off offset:3168 ; 16-byte Folded Reload
	scratch_load_dwordx2 v[4:5], off, off offset:3024 ; 8-byte Folded Reload
	v_fma_f32 v6, v92, v7, v116
	v_fmac_f32_e32 v6, v93, v8
	s_waitcnt vmcnt(3)
	v_mov_b32_e32 v116, v114
	v_mov_b32_e32 v115, v113
	s_waitcnt vmcnt(2)
	v_fma_f32 v7, v92, v99, v2
	v_fmac_f32_e32 v7, v93, v100
	scratch_load_dwordx3 v[100:102], off, off offset:3140 ; 12-byte Folded Reload
	s_waitcnt vmcnt(1)
	v_pk_fma_f32 v[44:45], v[94:95], v[4:5], v[6:7] op_sel_hi:[0,1,1]
	scratch_load_dwordx3 v[6:8], off, off offset:3088 ; 12-byte Folded Reload
	v_mov_b32_e32 v114, v112
	v_fma_f32 v104, v92, v37, v114
	s_waitcnt vmcnt(1)
	v_fma_f32 v16, v92, v101, v36
	v_fmac_f32_e32 v16, v93, v102
	s_waitcnt vmcnt(0)
	v_fma_f32 v99, v92, v3, v6
	v_fma_f32 v6, v92, v7, v100
	scratch_load_dwordx4 v[100:103], off, off offset:3116 ; 16-byte Folded Reload
	scratch_load_dwordx2 v[2:3], off, off offset:3080 ; 8-byte Folded Reload
	v_fmac_f32_e32 v6, v93, v8
	s_waitcnt vmcnt(1)
	v_fma_f32 v7, v92, v115, v100
	v_fmac_f32_e32 v7, v93, v116
	s_waitcnt vmcnt(0)
	v_pk_fma_f32 v[6:7], v[94:95], v[2:3], v[6:7] op_sel_hi:[0,1,1]
	scratch_load_dwordx4 v[2:5], off, off offset:3152 ; 16-byte Folded Reload
	s_waitcnt vmcnt(0)
	v_mov_b64_e32 v[4:5], v[2:3]
	scratch_load_dwordx2 v[2:3], off, off offset:3132 ; 8-byte Folded Reload
	v_fma_f32 v17, v92, v101, v4
	v_fmac_f32_e32 v17, v93, v102
	s_waitcnt vmcnt(0)
	v_pk_fma_f32 v[112:113], v[94:95], v[2:3], v[16:17] op_sel_hi:[0,1,1]
	scratch_load_dwordx2 v[36:37], off, off offset:1816 ; 8-byte Folded Reload
	scratch_load_dwordx3 v[2:4], off, off offset:3256 ; 12-byte Folded Reload
	scratch_load_dwordx3 v[114:116], off, off offset:3268 ; 12-byte Folded Reload
	s_waitcnt vmcnt(1)
	v_fma_f32 v105, v92, v5, v2
	scratch_load_dword v2, off, off offset:3216 ; 4-byte Folded Reload
	s_waitcnt vmcnt(1)
	v_fma_f32 v12, v92, v115, v52
	v_fma_f32 v8, v92, v3, v114
	v_fmac_f32_e32 v12, v93, v116
	v_pk_fma_f32 v[16:17], v[94:95], v[36:37], v[12:13] op_sel_hi:[0,1,1]
	scratch_load_dwordx2 v[12:13], off, off offset:2120 ; 8-byte Folded Reload
	v_fmac_f32_e32 v8, v93, v4
	v_pk_fma_f32 v[114:115], v[94:95], v[122:123], v[8:9] op_sel_hi:[0,1,1]
	s_waitcnt vmcnt(1)
	v_fma_f32 v10, v92, v53, v2
	v_mov_b32_e32 v2, v122
	scratch_store_dwordx2 off, v[2:3], off offset:1808 ; 8-byte Folded Spill
	scratch_load_dwordx2 v[2:3], off, off offset:1800 ; 8-byte Folded Reload
	s_waitcnt vmcnt(0)
	v_pk_fma_f32 v[8:9], v[92:93], v[106:107], v[2:3] op_sel:[1,0,0]
	s_nop 0
	v_pk_fma_f32 v[100:101], v[94:95], v[12:13], v[8:9] op_sel_hi:[0,1,1]
	scratch_load_dwordx2 v[12:13], off, off offset:2176 ; 8-byte Folded Reload
	v_pk_fma_f32 v[8:9], v[92:93], v[110:111], v[108:109] op_sel:[1,0,0]
	s_waitcnt vmcnt(0)
	v_pk_fma_f32 v[2:3], v[94:95], v[12:13], v[8:9] op_sel_hi:[0,1,1]
	scratch_load_dwordx2 v[8:9], off, off offset:2128 ; 8-byte Folded Reload
	s_waitcnt vmcnt(0)
	v_pk_fma_f32 v[4:5], v[94:95], v[8:9], v[0:1] op_sel_hi:[0,1,1]
	v_pk_fma_f32 v[0:1], v[92:93], v[58:59], v[56:57] op_sel:[1,0,0]
	scratch_load_dwordx2 v[56:57], off, off offset:1904 ; 8-byte Folded Reload
	scratch_load_dwordx2 v[8:9], off, off offset:2236 ; 8-byte Folded Reload
	s_waitcnt vmcnt(0)
	v_pk_fma_f32 v[58:59], v[94:95], v[8:9], v[0:1] op_sel_hi:[0,1,1]
	v_pk_fma_f32 v[0:1], v[92:93], v[26:27], v[18:19] op_sel:[1,0,0]
	scratch_load_dwordx2 v[18:19], off, off offset:1824 ; 8-byte Folded Reload
	scratch_load_dwordx2 v[8:9], off, off offset:2760 ; 8-byte Folded Reload
	v_mov_b32_e32 v26, 0
	v_mov_b32_e32 v27, 0x3e800000
	s_waitcnt vmcnt(0)
	v_pk_fma_f32 v[102:103], v[94:95], v[8:9], v[0:1] op_sel_hi:[0,1,1]
	v_pk_fma_f32 v[0:1], v[92:93], v[30:31], v[64:65] op_sel:[1,0,0]
	scratch_load_dwordx2 v[30:31], off, off offset:1872 ; 8-byte Folded Reload
	scratch_load_dwordx2 v[8:9], off, off offset:2768 ; 8-byte Folded Reload
	s_waitcnt vmcnt(0)
	v_pk_fma_f32 v[64:65], v[94:95], v[8:9], v[0:1] op_sel_hi:[0,1,1]
	v_pk_fma_f32 v[0:1], v[92:93], v[42:43], v[66:67] op_sel:[1,0,0]
	scratch_load_dwordx2 v[42:43], off, off offset:1880 ; 8-byte Folded Reload
	scratch_load_dwordx2 v[8:9], off, off offset:2776 ; 8-byte Folded Reload
	;; [unrolled: 5-line block ×5, first 2 shown]
	s_waitcnt vmcnt(0)
	v_pk_fma_f32 v[108:109], v[94:95], v[8:9], v[0:1] op_sel_hi:[0,1,1]
	v_pk_fma_f32 v[0:1], v[92:93], v[118:119], v[98:99] op_sel:[1,0,0]
	v_mov_b64_e32 v[118:119], v[54:55]
	v_mov_b64_e32 v[116:117], v[52:53]
	scratch_load_dwordx2 v[54:55], off, off offset:1864 ; 8-byte Folded Reload
	scratch_load_dwordx2 v[52:53], off, off offset:1856 ; 8-byte Folded Reload
	;; [unrolled: 1-line block ×3, first 2 shown]
	s_waitcnt vmcnt(0)
	v_pk_fma_f32 v[110:111], v[94:95], v[8:9], v[0:1] op_sel_hi:[0,1,1]
	v_pk_fma_f32 v[0:1], v[92:93], v[38:39], v[104:105] op_sel:[1,0,0]
	scratch_load_dwordx2 v[38:39], off, off offset:1840 ; 8-byte Folded Reload
	scratch_load_dwordx2 v[8:9], off, off offset:3208 ; 8-byte Folded Reload
	s_waitcnt vmcnt(0)
	v_pk_fma_f32 v[120:121], v[94:95], v[8:9], v[0:1] op_sel_hi:[0,1,1]
	v_pk_fma_f32 v[0:1], v[92:93], v[118:119], v[10:11] op_sel:[1,0,0]
	v_mov_b32_e32 v8, v28
	v_pk_fma_f32 v[122:123], v[94:95], v[28:29], v[0:1] op_sel_hi:[0,1,1]
	v_lshlrev_b64 v[0:1], 4, v[14:15]
	v_lshl_add_u64 v[0:1], s[22:23], 0, v[0:1]
	global_load_dwordx4 v[92:95], v[0:1], off
	scratch_load_dwordx2 v[28:29], off, off offset:1832 ; 8-byte Folded Reload
	v_mov_b32_e32 v0, 0x40b00000
	scratch_store_dwordx2 off, v[8:9], off offset:1800 ; 8-byte Folded Spill
	s_waitcnt vmcnt(2)
	v_cmp_gt_f32_e64 s[8:9], 0, v94
	s_nop 1
	v_cndmask_b32_e64 v13, 1.0, v0, s[8:9]
	v_mov_b32_e32 v0, 0xff7fffff
	v_cmp_lt_f32_e64 s[2:3], 0, v94
	v_cmp_eq_u32_e64 s[4:5], s37, v92
	v_cmp_eq_u32_e64 s[6:7], s38, v92
	v_cndmask_b32_e64 v15, v0, 1.0, s[8:9]
.LBB5_28:                               ;   Parent Loop BB5_27 Depth=1
                                        ; =>  This Inner Loop Header: Depth=2
	global_load_dwordx4 v[104:107], v26, s[30:31] offset:-8
	s_waitcnt vmcnt(0)
	v_ashrrev_i32_e32 v1, 31, v107
	v_mov_b32_e32 v0, v107
	v_lshlrev_b64 v[0:1], 4, v[0:1]
	v_lshl_add_u64 v[0:1], s[22:23], 0, v[0:1]
	global_load_dwordx4 v[96:99], v[0:1], off
	s_waitcnt vmcnt(0)
	v_add_f32_e32 v8, v93, v97
	v_div_scale_f32 v0, s[0:1], v8, v8, 1.0
	v_rcp_f32_e32 v1, v0
	v_cmp_lt_f32_e64 s[0:1], 0, v98
	s_and_b64 s[0:1], s[0:1], s[8:9]
	v_cmp_neq_f32_e64 s[10:11], 0, v98
	v_fma_f32 v9, -v0, v1, 1.0
	v_fmac_f32_e32 v1, v9, v1
	v_div_scale_f32 v9, vcc, 1.0, v8, 1.0
	v_mul_f32_e32 v10, v9, v1
	v_fma_f32 v11, -v0, v10, v9
	v_fmac_f32_e32 v10, v11, v1
	v_fma_f32 v0, -v0, v10, v9
	v_div_fmas_f32 v0, v0, v1, v10
	v_cmp_eq_u32_e32 vcc, s37, v96
	s_and_b64 vcc, vcc, s[4:5]
	v_div_fixup_f32 v126, v0, v8, 1.0
	v_cndmask_b32_e64 v1, 2.0, 4.0, vcc
	v_cndmask_b32_e32 v12, 0.5, v27, vcc
	v_cmp_eq_u32_e32 vcc, s38, v96
	s_or_b64 s[34:35], vcc, s[6:7]
	v_cmp_gt_f32_e32 vcc, 0, v98
	v_cndmask_b32_e64 v10, v94, -v94, s[0:1]
	s_and_b64 s[14:15], vcc, s[2:3]
	v_cndmask_b32_e32 v0, v15, v13, vcc
	v_div_scale_f32 v11, s[0:1], v0, v0, 1.0
	v_rcp_f32_e32 v14, v11
	v_cndmask_b32_e64 v9, v98, -v98, s[14:15]
	v_mul_f32_e32 v124, v95, v99
	v_pk_add_f32 v[98:99], v[100:101], v[106:107] op_sel_hi:[1,0] neg_lo:[0,1] neg_hi:[0,1]
	v_fma_f32 v92, -v11, v14, 1.0
	v_fmac_f32_e32 v14, v92, v14
	v_div_scale_f32 v92, vcc, 1.0, v0, 1.0
	v_mul_f32_e32 v96, v92, v14
	v_fma_f32 v97, -v11, v96, v92
	v_fmac_f32_e32 v96, v97, v14
	v_fma_f32 v11, -v11, v96, v92
	v_div_fmas_f32 v11, v11, v14, v96
	v_pk_add_f32 v[96:97], v[62:63], v[104:105] op_sel:[0,1] neg_lo:[0,1] neg_hi:[0,1]
	v_div_fixup_f32 v14, v11, v0, 1.0
	v_add_f32_e32 v92, v9, v10
	v_pk_add_f32 v[10:11], v[56:57], v[104:105] op_sel_hi:[1,0] neg_lo:[0,1] neg_hi:[0,1]
	v_pk_mul_f32 v[96:97], v[96:97], v[96:97]
	s_nop 0
	v_pk_fma_f32 v[10:11], v[10:11], v[10:11], v[96:97]
	s_nop 0
	v_pk_fma_f32 v[10:11], v[98:99], v[98:99], v[10:11]
	s_nop 0
	v_cmp_gt_f32_e32 vcc, s39, v11
	v_mul_f32_e32 v9, 0x4f800000, v11
	s_nop 0
	v_cndmask_b32_e32 v9, v11, v9, vcc
	v_sqrt_f32_e32 v11, v9
	s_nop 0
	v_add_u32_e32 v96, -1, v11
	v_fma_f32 v97, -v96, v11, v9
	v_cmp_ge_f32_e64 s[0:1], 0, v97
	v_add_u32_e32 v97, 1, v11
	s_nop 0
	v_cndmask_b32_e64 v96, v11, v96, s[0:1]
	v_fma_f32 v11, -v97, v11, v9
	v_cmp_lt_f32_e64 s[0:1], 0, v11
	s_nop 1
	v_cndmask_b32_e64 v11, v96, v97, s[0:1]
	v_mul_f32_e32 v96, 0x37800000, v11
	v_cndmask_b32_e32 v11, v11, v96, vcc
	v_cmp_class_f32_e32 vcc, v9, v127
	s_nop 1
	v_cndmask_b32_e32 v11, v11, v9, vcc
	v_cmp_gt_f32_e32 vcc, s39, v10
	v_mul_f32_e32 v9, 0x4f800000, v10
	s_nop 0
	v_cndmask_b32_e32 v9, v10, v9, vcc
	v_sqrt_f32_e32 v10, v9
	s_nop 0
	v_add_u32_e32 v96, -1, v10
	v_fma_f32 v97, -v96, v10, v9
	v_cmp_ge_f32_e64 s[0:1], 0, v97
	v_add_u32_e32 v97, 1, v10
	s_nop 0
	v_cndmask_b32_e64 v96, v10, v96, s[0:1]
	v_fma_f32 v10, -v97, v10, v9
	v_cmp_lt_f32_e64 s[0:1], 0, v10
	s_nop 1
	v_cndmask_b32_e64 v10, v96, v97, s[0:1]
	v_mul_f32_e32 v96, 0x37800000, v10
	v_cndmask_b32_e32 v10, v10, v96, vcc
	v_cmp_class_f32_e32 vcc, v9, v127
	s_nop 1
	v_cndmask_b32_e32 v10, v10, v9, vcc
	v_pk_add_f32 v[96:97], v[10:11], v[8:9] op_sel_hi:[1,0] neg_lo:[0,1] neg_hi:[0,1]
	v_pk_fma_f32 v[10:11], v[126:127], v[10:11], 1.0 op_sel_hi:[0,1,0] neg_lo:[1,0,0] neg_hi:[1,0,0]
	v_cmp_gt_f32_e32 vcc, 0, v96
	v_cmp_gt_f32_e64 s[0:1], 0, v97
	v_cmp_lt_f32_e64 s[14:15], v96, v1
	v_cndmask_b32_e32 v98, 0, v125, vcc
	v_cndmask_b32_e64 v99, 0, v125, s[0:1]
	v_pk_fma_f32 v[10:11], v[10:11], v[98:99], v[88:89]
	v_pk_fma_f32 v[88:89], v[12:13], v[96:97], 1.0 op_sel_hi:[0,1,0] neg_lo:[1,0,0] neg_hi:[1,0,0]
	v_cmp_lt_f32_e64 s[16:17], v97, v1
	v_cndmask_b32_e64 v89, v89, 1.0, s[0:1]
	v_cndmask_b32_e64 v88, v88, 1.0, vcc
	v_cndmask_b32_e64 v99, 0, 1.0, s[16:17]
	v_cndmask_b32_e64 v98, 0, 1.0, s[14:15]
	v_pk_mul_f32 v[88:89], v[98:99], v[88:89]
	v_cmp_lt_f32_e64 s[14:15], v97, v0
	v_pk_mul_f32 v[88:89], v[124:125], v[88:89] op_sel_hi:[0,1]
	v_cmp_lt_f32_e64 s[16:17], v96, v0
	v_cndmask_b32_e64 v89, v89, -|v89|, s[34:35]
	v_cndmask_b32_e64 v88, v88, -|v88|, s[34:35]
	s_and_b64 s[16:17], s[10:11], s[16:17]
	s_and_b64 s[14:15], s[10:11], s[14:15]
	v_pk_fma_f32 v[10:11], v[88:89], s[28:29], v[10:11] op_sel_hi:[1,0,1]
	v_pk_fma_f32 v[88:89], v[14:15], v[96:97], 1.0 op_sel_hi:[0,1,0] neg_lo:[1,0,0] neg_hi:[1,0,0]
	v_cndmask_b32_e64 v97, 0, 1.0, s[14:15]
	v_cndmask_b32_e64 v96, 0, 1.0, s[16:17]
	v_pk_mul_f32 v[96:97], v[92:93], v[96:97] op_sel_hi:[0,1]
	v_cndmask_b32_e64 v89, v89, 1.0, s[0:1]
	v_cndmask_b32_e64 v88, v88, 1.0, vcc
	v_pk_fma_f32 v[88:89], v[88:89], v[96:97], v[10:11]
	scratch_load_dwordx2 v[10:11], off, off offset:1664 ; 8-byte Folded Reload
	scratch_load_dwordx2 v[96:97], off, off offset:1672 ; 8-byte Folded Reload
	v_pk_add_f32 v[98:99], v[2:3], v[106:107] op_sel_hi:[1,0] neg_lo:[0,1] neg_hi:[0,1]
	s_waitcnt vmcnt(1)
	v_pk_add_f32 v[10:11], v[10:11], v[104:105] op_sel_hi:[1,0] neg_lo:[0,1] neg_hi:[0,1]
	s_waitcnt vmcnt(0)
	v_pk_add_f32 v[96:97], v[96:97], v[104:105] op_sel:[0,1] neg_lo:[0,1] neg_hi:[0,1]
	s_nop 0
	v_pk_mul_f32 v[96:97], v[96:97], v[96:97]
	s_nop 0
	v_pk_fma_f32 v[10:11], v[10:11], v[10:11], v[96:97]
	s_nop 0
	v_pk_fma_f32 v[10:11], v[98:99], v[98:99], v[10:11]
	s_nop 0
	v_cmp_gt_f32_e32 vcc, s39, v11
	v_mul_f32_e32 v9, 0x4f800000, v11
	s_nop 0
	v_cndmask_b32_e32 v9, v11, v9, vcc
	v_sqrt_f32_e32 v11, v9
	s_nop 0
	v_add_u32_e32 v96, -1, v11
	v_fma_f32 v97, -v96, v11, v9
	v_cmp_ge_f32_e64 s[0:1], 0, v97
	v_add_u32_e32 v97, 1, v11
	s_nop 0
	v_cndmask_b32_e64 v96, v11, v96, s[0:1]
	v_fma_f32 v11, -v97, v11, v9
	v_cmp_lt_f32_e64 s[0:1], 0, v11
	s_nop 1
	v_cndmask_b32_e64 v11, v96, v97, s[0:1]
	v_mul_f32_e32 v96, 0x37800000, v11
	v_cndmask_b32_e32 v11, v11, v96, vcc
	v_cmp_class_f32_e32 vcc, v9, v127
	s_nop 1
	v_cndmask_b32_e32 v11, v11, v9, vcc
	v_cmp_gt_f32_e32 vcc, s39, v10
	v_mul_f32_e32 v9, 0x4f800000, v10
	s_nop 0
	v_cndmask_b32_e32 v9, v10, v9, vcc
	v_sqrt_f32_e32 v10, v9
	s_nop 0
	v_add_u32_e32 v96, -1, v10
	v_fma_f32 v97, -v96, v10, v9
	v_cmp_ge_f32_e64 s[0:1], 0, v97
	v_add_u32_e32 v97, 1, v10
	s_nop 0
	v_cndmask_b32_e64 v96, v10, v96, s[0:1]
	v_fma_f32 v10, -v97, v10, v9
	v_cmp_lt_f32_e64 s[0:1], 0, v10
	s_nop 1
	v_cndmask_b32_e64 v10, v96, v97, s[0:1]
	v_mul_f32_e32 v96, 0x37800000, v10
	v_cndmask_b32_e32 v10, v10, v96, vcc
	v_cmp_class_f32_e32 vcc, v9, v127
	s_nop 1
	v_cndmask_b32_e32 v10, v10, v9, vcc
	v_pk_add_f32 v[96:97], v[10:11], v[8:9] op_sel_hi:[1,0] neg_lo:[0,1] neg_hi:[0,1]
	v_pk_fma_f32 v[10:11], v[126:127], v[10:11], 1.0 op_sel_hi:[0,1,0] neg_lo:[1,0,0] neg_hi:[1,0,0]
	v_cmp_gt_f32_e32 vcc, 0, v96
	v_cmp_gt_f32_e64 s[0:1], 0, v97
	v_cmp_lt_f32_e64 s[14:15], v96, v1
	v_cndmask_b32_e32 v98, 0, v125, vcc
	v_cndmask_b32_e64 v99, 0, v125, s[0:1]
	v_pk_fma_f32 v[10:11], v[10:11], v[98:99], v[90:91]
	v_pk_fma_f32 v[90:91], v[12:13], v[96:97], 1.0 op_sel_hi:[0,1,0] neg_lo:[1,0,0] neg_hi:[1,0,0]
	v_cmp_lt_f32_e64 s[16:17], v97, v1
	v_cndmask_b32_e64 v91, v91, 1.0, s[0:1]
	v_cndmask_b32_e64 v90, v90, 1.0, vcc
	v_cndmask_b32_e64 v99, 0, 1.0, s[16:17]
	v_cndmask_b32_e64 v98, 0, 1.0, s[14:15]
	v_pk_mul_f32 v[90:91], v[98:99], v[90:91]
	v_cmp_lt_f32_e64 s[14:15], v97, v0
	v_pk_mul_f32 v[90:91], v[124:125], v[90:91] op_sel_hi:[0,1]
	v_cmp_lt_f32_e64 s[16:17], v96, v0
	v_cndmask_b32_e64 v91, v91, -|v91|, s[34:35]
	v_cndmask_b32_e64 v90, v90, -|v90|, s[34:35]
	s_and_b64 s[16:17], s[10:11], s[16:17]
	s_and_b64 s[14:15], s[10:11], s[14:15]
	v_pk_fma_f32 v[10:11], v[90:91], s[28:29], v[10:11] op_sel_hi:[1,0,1]
	v_pk_fma_f32 v[90:91], v[14:15], v[96:97], 1.0 op_sel_hi:[0,1,0] neg_lo:[1,0,0] neg_hi:[1,0,0]
	v_cndmask_b32_e64 v97, 0, 1.0, s[14:15]
	v_cndmask_b32_e64 v96, 0, 1.0, s[16:17]
	v_pk_mul_f32 v[96:97], v[92:93], v[96:97] op_sel_hi:[0,1]
	v_cndmask_b32_e64 v91, v91, 1.0, s[0:1]
	v_cndmask_b32_e64 v90, v90, 1.0, vcc
	v_pk_fma_f32 v[90:91], v[90:91], v[96:97], v[10:11]
	scratch_load_dwordx2 v[10:11], off, off offset:1680 ; 8-byte Folded Reload
	scratch_load_dwordx2 v[96:97], off, off offset:1688 ; 8-byte Folded Reload
	v_pk_add_f32 v[98:99], v[4:5], v[106:107] op_sel_hi:[1,0] neg_lo:[0,1] neg_hi:[0,1]
	s_waitcnt vmcnt(1)
	v_pk_add_f32 v[10:11], v[10:11], v[104:105] op_sel_hi:[1,0] neg_lo:[0,1] neg_hi:[0,1]
	s_waitcnt vmcnt(0)
	v_pk_add_f32 v[96:97], v[96:97], v[104:105] op_sel:[0,1] neg_lo:[0,1] neg_hi:[0,1]
	s_nop 0
	v_pk_mul_f32 v[96:97], v[96:97], v[96:97]
	s_nop 0
	v_pk_fma_f32 v[10:11], v[10:11], v[10:11], v[96:97]
	s_nop 0
	v_pk_fma_f32 v[10:11], v[98:99], v[98:99], v[10:11]
	s_nop 0
	v_cmp_gt_f32_e32 vcc, s39, v11
	v_mul_f32_e32 v9, 0x4f800000, v11
	s_nop 0
	v_cndmask_b32_e32 v9, v11, v9, vcc
	v_sqrt_f32_e32 v11, v9
	s_nop 0
	v_add_u32_e32 v96, -1, v11
	v_fma_f32 v97, -v96, v11, v9
	v_cmp_ge_f32_e64 s[0:1], 0, v97
	v_add_u32_e32 v97, 1, v11
	s_nop 0
	v_cndmask_b32_e64 v96, v11, v96, s[0:1]
	v_fma_f32 v11, -v97, v11, v9
	v_cmp_lt_f32_e64 s[0:1], 0, v11
	s_nop 1
	v_cndmask_b32_e64 v11, v96, v97, s[0:1]
	v_mul_f32_e32 v96, 0x37800000, v11
	v_cndmask_b32_e32 v11, v11, v96, vcc
	v_cmp_class_f32_e32 vcc, v9, v127
	s_nop 1
	v_cndmask_b32_e32 v11, v11, v9, vcc
	v_cmp_gt_f32_e32 vcc, s39, v10
	v_mul_f32_e32 v9, 0x4f800000, v10
	s_nop 0
	v_cndmask_b32_e32 v9, v10, v9, vcc
	v_sqrt_f32_e32 v10, v9
	s_nop 0
	v_add_u32_e32 v96, -1, v10
	v_fma_f32 v97, -v96, v10, v9
	v_cmp_ge_f32_e64 s[0:1], 0, v97
	v_add_u32_e32 v97, 1, v10
	s_nop 0
	v_cndmask_b32_e64 v96, v10, v96, s[0:1]
	v_fma_f32 v10, -v97, v10, v9
	v_cmp_lt_f32_e64 s[0:1], 0, v10
	s_nop 1
	v_cndmask_b32_e64 v10, v96, v97, s[0:1]
	v_mul_f32_e32 v96, 0x37800000, v10
	v_cndmask_b32_e32 v10, v10, v96, vcc
	v_cmp_class_f32_e32 vcc, v9, v127
	s_nop 1
	v_cndmask_b32_e32 v10, v10, v9, vcc
	v_pk_add_f32 v[96:97], v[10:11], v[8:9] op_sel_hi:[1,0] neg_lo:[0,1] neg_hi:[0,1]
	v_pk_fma_f32 v[10:11], v[126:127], v[10:11], 1.0 op_sel_hi:[0,1,0] neg_lo:[1,0,0] neg_hi:[1,0,0]
	v_cmp_gt_f32_e32 vcc, 0, v96
	v_cmp_gt_f32_e64 s[0:1], 0, v97
	v_cmp_lt_f32_e64 s[14:15], v96, v1
	v_cndmask_b32_e32 v98, 0, v125, vcc
	v_cndmask_b32_e64 v99, 0, v125, s[0:1]
	v_pk_fma_f32 v[10:11], v[10:11], v[98:99], v[84:85]
	v_pk_fma_f32 v[84:85], v[12:13], v[96:97], 1.0 op_sel_hi:[0,1,0] neg_lo:[1,0,0] neg_hi:[1,0,0]
	v_cmp_lt_f32_e64 s[16:17], v97, v1
	v_cndmask_b32_e64 v85, v85, 1.0, s[0:1]
	v_cndmask_b32_e64 v84, v84, 1.0, vcc
	v_cndmask_b32_e64 v99, 0, 1.0, s[16:17]
	v_cndmask_b32_e64 v98, 0, 1.0, s[14:15]
	v_pk_mul_f32 v[84:85], v[98:99], v[84:85]
	v_cmp_lt_f32_e64 s[14:15], v97, v0
	v_pk_mul_f32 v[84:85], v[124:125], v[84:85] op_sel_hi:[0,1]
	v_cmp_lt_f32_e64 s[16:17], v96, v0
	v_cndmask_b32_e64 v85, v85, -|v85|, s[34:35]
	v_cndmask_b32_e64 v84, v84, -|v84|, s[34:35]
	s_and_b64 s[16:17], s[10:11], s[16:17]
	s_and_b64 s[14:15], s[10:11], s[14:15]
	v_pk_fma_f32 v[10:11], v[84:85], s[28:29], v[10:11] op_sel_hi:[1,0,1]
	v_pk_fma_f32 v[84:85], v[14:15], v[96:97], 1.0 op_sel_hi:[0,1,0] neg_lo:[1,0,0] neg_hi:[1,0,0]
	v_cndmask_b32_e64 v97, 0, 1.0, s[14:15]
	v_cndmask_b32_e64 v96, 0, 1.0, s[16:17]
	v_pk_mul_f32 v[96:97], v[92:93], v[96:97] op_sel_hi:[0,1]
	v_cndmask_b32_e64 v85, v85, 1.0, s[0:1]
	v_cndmask_b32_e64 v84, v84, 1.0, vcc
	v_pk_fma_f32 v[84:85], v[84:85], v[96:97], v[10:11]
	scratch_load_dwordx2 v[10:11], off, off offset:1696 ; 8-byte Folded Reload
	scratch_load_dwordx2 v[96:97], off, off offset:1704 ; 8-byte Folded Reload
	v_pk_add_f32 v[98:99], v[58:59], v[106:107] op_sel_hi:[1,0] neg_lo:[0,1] neg_hi:[0,1]
	s_waitcnt vmcnt(1)
	v_pk_add_f32 v[10:11], v[10:11], v[104:105] op_sel_hi:[1,0] neg_lo:[0,1] neg_hi:[0,1]
	s_waitcnt vmcnt(0)
	v_pk_add_f32 v[96:97], v[96:97], v[104:105] op_sel:[0,1] neg_lo:[0,1] neg_hi:[0,1]
	s_nop 0
	v_pk_mul_f32 v[96:97], v[96:97], v[96:97]
	s_nop 0
	v_pk_fma_f32 v[10:11], v[10:11], v[10:11], v[96:97]
	s_nop 0
	v_pk_fma_f32 v[10:11], v[98:99], v[98:99], v[10:11]
	s_nop 0
	v_cmp_gt_f32_e32 vcc, s39, v11
	v_mul_f32_e32 v9, 0x4f800000, v11
	s_nop 0
	v_cndmask_b32_e32 v9, v11, v9, vcc
	v_sqrt_f32_e32 v11, v9
	s_nop 0
	v_add_u32_e32 v96, -1, v11
	v_fma_f32 v97, -v96, v11, v9
	v_cmp_ge_f32_e64 s[0:1], 0, v97
	v_add_u32_e32 v97, 1, v11
	s_nop 0
	v_cndmask_b32_e64 v96, v11, v96, s[0:1]
	v_fma_f32 v11, -v97, v11, v9
	v_cmp_lt_f32_e64 s[0:1], 0, v11
	s_nop 1
	v_cndmask_b32_e64 v11, v96, v97, s[0:1]
	v_mul_f32_e32 v96, 0x37800000, v11
	v_cndmask_b32_e32 v11, v11, v96, vcc
	v_cmp_class_f32_e32 vcc, v9, v127
	s_nop 1
	v_cndmask_b32_e32 v11, v11, v9, vcc
	v_cmp_gt_f32_e32 vcc, s39, v10
	v_mul_f32_e32 v9, 0x4f800000, v10
	s_nop 0
	v_cndmask_b32_e32 v9, v10, v9, vcc
	v_sqrt_f32_e32 v10, v9
	s_nop 0
	v_add_u32_e32 v96, -1, v10
	v_fma_f32 v97, -v96, v10, v9
	v_cmp_ge_f32_e64 s[0:1], 0, v97
	v_add_u32_e32 v97, 1, v10
	s_nop 0
	v_cndmask_b32_e64 v96, v10, v96, s[0:1]
	v_fma_f32 v10, -v97, v10, v9
	v_cmp_lt_f32_e64 s[0:1], 0, v10
	s_nop 1
	v_cndmask_b32_e64 v10, v96, v97, s[0:1]
	v_mul_f32_e32 v96, 0x37800000, v10
	v_cndmask_b32_e32 v10, v10, v96, vcc
	v_cmp_class_f32_e32 vcc, v9, v127
	s_nop 1
	v_cndmask_b32_e32 v10, v10, v9, vcc
	v_pk_add_f32 v[96:97], v[10:11], v[8:9] op_sel_hi:[1,0] neg_lo:[0,1] neg_hi:[0,1]
	v_pk_fma_f32 v[10:11], v[126:127], v[10:11], 1.0 op_sel_hi:[0,1,0] neg_lo:[1,0,0] neg_hi:[1,0,0]
	v_cmp_gt_f32_e32 vcc, 0, v96
	v_cmp_gt_f32_e64 s[0:1], 0, v97
	v_cmp_lt_f32_e64 s[14:15], v96, v1
	v_cndmask_b32_e32 v98, 0, v125, vcc
	v_cndmask_b32_e64 v99, 0, v125, s[0:1]
	v_pk_fma_f32 v[10:11], v[10:11], v[98:99], v[86:87]
	v_pk_fma_f32 v[86:87], v[12:13], v[96:97], 1.0 op_sel_hi:[0,1,0] neg_lo:[1,0,0] neg_hi:[1,0,0]
	v_cmp_lt_f32_e64 s[16:17], v97, v1
	v_cndmask_b32_e64 v87, v87, 1.0, s[0:1]
	v_cndmask_b32_e64 v86, v86, 1.0, vcc
	v_cndmask_b32_e64 v99, 0, 1.0, s[16:17]
	v_cndmask_b32_e64 v98, 0, 1.0, s[14:15]
	v_pk_mul_f32 v[86:87], v[98:99], v[86:87]
	v_cmp_lt_f32_e64 s[14:15], v97, v0
	v_pk_mul_f32 v[86:87], v[124:125], v[86:87] op_sel_hi:[0,1]
	v_cmp_lt_f32_e64 s[16:17], v96, v0
	v_cndmask_b32_e64 v87, v87, -|v87|, s[34:35]
	v_cndmask_b32_e64 v86, v86, -|v86|, s[34:35]
	s_and_b64 s[16:17], s[10:11], s[16:17]
	s_and_b64 s[14:15], s[10:11], s[14:15]
	v_pk_fma_f32 v[10:11], v[86:87], s[28:29], v[10:11] op_sel_hi:[1,0,1]
	v_pk_fma_f32 v[86:87], v[14:15], v[96:97], 1.0 op_sel_hi:[0,1,0] neg_lo:[1,0,0] neg_hi:[1,0,0]
	v_cndmask_b32_e64 v97, 0, 1.0, s[14:15]
	v_cndmask_b32_e64 v96, 0, 1.0, s[16:17]
	v_pk_mul_f32 v[96:97], v[92:93], v[96:97] op_sel_hi:[0,1]
	v_cndmask_b32_e64 v87, v87, 1.0, s[0:1]
	v_cndmask_b32_e64 v86, v86, 1.0, vcc
	v_pk_fma_f32 v[86:87], v[86:87], v[96:97], v[10:11]
	scratch_load_dwordx2 v[10:11], off, off offset:1712 ; 8-byte Folded Reload
	scratch_load_dwordx2 v[96:97], off, off offset:1720 ; 8-byte Folded Reload
	v_pk_add_f32 v[98:99], v[102:103], v[106:107] op_sel_hi:[1,0] neg_lo:[0,1] neg_hi:[0,1]
	s_waitcnt vmcnt(1)
	v_pk_add_f32 v[10:11], v[10:11], v[104:105] op_sel_hi:[1,0] neg_lo:[0,1] neg_hi:[0,1]
	s_waitcnt vmcnt(0)
	v_pk_add_f32 v[96:97], v[96:97], v[104:105] op_sel:[0,1] neg_lo:[0,1] neg_hi:[0,1]
	s_nop 0
	v_pk_mul_f32 v[96:97], v[96:97], v[96:97]
	s_nop 0
	v_pk_fma_f32 v[10:11], v[10:11], v[10:11], v[96:97]
	s_nop 0
	v_pk_fma_f32 v[10:11], v[98:99], v[98:99], v[10:11]
	s_nop 0
	v_cmp_gt_f32_e32 vcc, s39, v11
	v_mul_f32_e32 v9, 0x4f800000, v11
	s_nop 0
	v_cndmask_b32_e32 v9, v11, v9, vcc
	v_sqrt_f32_e32 v11, v9
	s_nop 0
	v_add_u32_e32 v96, -1, v11
	v_fma_f32 v97, -v96, v11, v9
	v_cmp_ge_f32_e64 s[0:1], 0, v97
	v_add_u32_e32 v97, 1, v11
	s_nop 0
	v_cndmask_b32_e64 v96, v11, v96, s[0:1]
	v_fma_f32 v11, -v97, v11, v9
	v_cmp_lt_f32_e64 s[0:1], 0, v11
	s_nop 1
	v_cndmask_b32_e64 v11, v96, v97, s[0:1]
	v_mul_f32_e32 v96, 0x37800000, v11
	v_cndmask_b32_e32 v11, v11, v96, vcc
	v_cmp_class_f32_e32 vcc, v9, v127
	s_nop 1
	v_cndmask_b32_e32 v11, v11, v9, vcc
	v_cmp_gt_f32_e32 vcc, s39, v10
	v_mul_f32_e32 v9, 0x4f800000, v10
	s_nop 0
	v_cndmask_b32_e32 v9, v10, v9, vcc
	v_sqrt_f32_e32 v10, v9
	s_nop 0
	v_add_u32_e32 v96, -1, v10
	v_fma_f32 v97, -v96, v10, v9
	v_cmp_ge_f32_e64 s[0:1], 0, v97
	v_add_u32_e32 v97, 1, v10
	s_nop 0
	v_cndmask_b32_e64 v96, v10, v96, s[0:1]
	v_fma_f32 v10, -v97, v10, v9
	v_cmp_lt_f32_e64 s[0:1], 0, v10
	s_nop 1
	v_cndmask_b32_e64 v10, v96, v97, s[0:1]
	v_mul_f32_e32 v96, 0x37800000, v10
	v_cndmask_b32_e32 v10, v10, v96, vcc
	v_cmp_class_f32_e32 vcc, v9, v127
	s_nop 1
	v_cndmask_b32_e32 v10, v10, v9, vcc
	v_pk_add_f32 v[96:97], v[10:11], v[8:9] op_sel_hi:[1,0] neg_lo:[0,1] neg_hi:[0,1]
	v_pk_fma_f32 v[10:11], v[126:127], v[10:11], 1.0 op_sel_hi:[0,1,0] neg_lo:[1,0,0] neg_hi:[1,0,0]
	v_cmp_gt_f32_e32 vcc, 0, v96
	v_cmp_gt_f32_e64 s[0:1], 0, v97
	v_cmp_lt_f32_e64 s[14:15], v96, v1
	v_cndmask_b32_e32 v98, 0, v125, vcc
	v_cndmask_b32_e64 v99, 0, v125, s[0:1]
	v_pk_fma_f32 v[10:11], v[10:11], v[98:99], v[80:81]
	v_pk_fma_f32 v[80:81], v[12:13], v[96:97], 1.0 op_sel_hi:[0,1,0] neg_lo:[1,0,0] neg_hi:[1,0,0]
	v_cmp_lt_f32_e64 s[16:17], v97, v1
	v_cndmask_b32_e64 v81, v81, 1.0, s[0:1]
	v_cndmask_b32_e64 v80, v80, 1.0, vcc
	v_cndmask_b32_e64 v99, 0, 1.0, s[16:17]
	v_cndmask_b32_e64 v98, 0, 1.0, s[14:15]
	v_pk_mul_f32 v[80:81], v[98:99], v[80:81]
	v_cmp_lt_f32_e64 s[14:15], v97, v0
	v_pk_mul_f32 v[80:81], v[124:125], v[80:81] op_sel_hi:[0,1]
	v_cmp_lt_f32_e64 s[16:17], v96, v0
	v_cndmask_b32_e64 v81, v81, -|v81|, s[34:35]
	v_cndmask_b32_e64 v80, v80, -|v80|, s[34:35]
	s_and_b64 s[16:17], s[10:11], s[16:17]
	s_and_b64 s[14:15], s[10:11], s[14:15]
	v_pk_fma_f32 v[10:11], v[80:81], s[28:29], v[10:11] op_sel_hi:[1,0,1]
	v_pk_fma_f32 v[80:81], v[14:15], v[96:97], 1.0 op_sel_hi:[0,1,0] neg_lo:[1,0,0] neg_hi:[1,0,0]
	v_cndmask_b32_e64 v97, 0, 1.0, s[14:15]
	v_cndmask_b32_e64 v96, 0, 1.0, s[16:17]
	v_pk_mul_f32 v[96:97], v[92:93], v[96:97] op_sel_hi:[0,1]
	v_cndmask_b32_e64 v81, v81, 1.0, s[0:1]
	v_cndmask_b32_e64 v80, v80, 1.0, vcc
	v_pk_fma_f32 v[80:81], v[80:81], v[96:97], v[10:11]
	scratch_load_dwordx2 v[10:11], off, off offset:1728 ; 8-byte Folded Reload
	scratch_load_dwordx2 v[96:97], off, off offset:1736 ; 8-byte Folded Reload
	v_pk_add_f32 v[98:99], v[64:65], v[106:107] op_sel_hi:[1,0] neg_lo:[0,1] neg_hi:[0,1]
	s_waitcnt vmcnt(1)
	v_pk_add_f32 v[10:11], v[10:11], v[104:105] op_sel_hi:[1,0] neg_lo:[0,1] neg_hi:[0,1]
	s_waitcnt vmcnt(0)
	v_pk_add_f32 v[96:97], v[96:97], v[104:105] op_sel:[0,1] neg_lo:[0,1] neg_hi:[0,1]
	s_nop 0
	v_pk_mul_f32 v[96:97], v[96:97], v[96:97]
	s_nop 0
	v_pk_fma_f32 v[10:11], v[10:11], v[10:11], v[96:97]
	s_nop 0
	v_pk_fma_f32 v[10:11], v[98:99], v[98:99], v[10:11]
	s_nop 0
	v_cmp_gt_f32_e32 vcc, s39, v11
	v_mul_f32_e32 v9, 0x4f800000, v11
	s_nop 0
	v_cndmask_b32_e32 v9, v11, v9, vcc
	v_sqrt_f32_e32 v11, v9
	s_nop 0
	v_add_u32_e32 v96, -1, v11
	v_fma_f32 v97, -v96, v11, v9
	v_cmp_ge_f32_e64 s[0:1], 0, v97
	v_add_u32_e32 v97, 1, v11
	s_nop 0
	v_cndmask_b32_e64 v96, v11, v96, s[0:1]
	v_fma_f32 v11, -v97, v11, v9
	v_cmp_lt_f32_e64 s[0:1], 0, v11
	s_nop 1
	v_cndmask_b32_e64 v11, v96, v97, s[0:1]
	v_mul_f32_e32 v96, 0x37800000, v11
	v_cndmask_b32_e32 v11, v11, v96, vcc
	v_cmp_class_f32_e32 vcc, v9, v127
	s_nop 1
	v_cndmask_b32_e32 v11, v11, v9, vcc
	v_cmp_gt_f32_e32 vcc, s39, v10
	v_mul_f32_e32 v9, 0x4f800000, v10
	s_nop 0
	v_cndmask_b32_e32 v9, v10, v9, vcc
	v_sqrt_f32_e32 v10, v9
	s_nop 0
	v_add_u32_e32 v96, -1, v10
	v_fma_f32 v97, -v96, v10, v9
	v_cmp_ge_f32_e64 s[0:1], 0, v97
	v_add_u32_e32 v97, 1, v10
	s_nop 0
	v_cndmask_b32_e64 v96, v10, v96, s[0:1]
	v_fma_f32 v10, -v97, v10, v9
	v_cmp_lt_f32_e64 s[0:1], 0, v10
	s_nop 1
	v_cndmask_b32_e64 v10, v96, v97, s[0:1]
	v_mul_f32_e32 v96, 0x37800000, v10
	v_cndmask_b32_e32 v10, v10, v96, vcc
	v_cmp_class_f32_e32 vcc, v9, v127
	s_nop 1
	v_cndmask_b32_e32 v10, v10, v9, vcc
	v_pk_add_f32 v[96:97], v[10:11], v[8:9] op_sel_hi:[1,0] neg_lo:[0,1] neg_hi:[0,1]
	v_pk_fma_f32 v[10:11], v[126:127], v[10:11], 1.0 op_sel_hi:[0,1,0] neg_lo:[1,0,0] neg_hi:[1,0,0]
	v_cmp_gt_f32_e32 vcc, 0, v96
	v_cmp_gt_f32_e64 s[0:1], 0, v97
	v_cmp_lt_f32_e64 s[14:15], v96, v1
	v_cndmask_b32_e32 v98, 0, v125, vcc
	v_cndmask_b32_e64 v99, 0, v125, s[0:1]
	v_pk_fma_f32 v[10:11], v[10:11], v[98:99], v[82:83]
	v_pk_fma_f32 v[82:83], v[12:13], v[96:97], 1.0 op_sel_hi:[0,1,0] neg_lo:[1,0,0] neg_hi:[1,0,0]
	v_cmp_lt_f32_e64 s[16:17], v97, v1
	v_cndmask_b32_e64 v83, v83, 1.0, s[0:1]
	v_cndmask_b32_e64 v82, v82, 1.0, vcc
	v_cndmask_b32_e64 v99, 0, 1.0, s[16:17]
	v_cndmask_b32_e64 v98, 0, 1.0, s[14:15]
	v_pk_mul_f32 v[82:83], v[98:99], v[82:83]
	v_cmp_lt_f32_e64 s[14:15], v97, v0
	v_pk_mul_f32 v[82:83], v[124:125], v[82:83] op_sel_hi:[0,1]
	v_cmp_lt_f32_e64 s[16:17], v96, v0
	v_cndmask_b32_e64 v83, v83, -|v83|, s[34:35]
	v_cndmask_b32_e64 v82, v82, -|v82|, s[34:35]
	s_and_b64 s[16:17], s[10:11], s[16:17]
	s_and_b64 s[14:15], s[10:11], s[14:15]
	v_pk_fma_f32 v[10:11], v[82:83], s[28:29], v[10:11] op_sel_hi:[1,0,1]
	v_pk_fma_f32 v[82:83], v[14:15], v[96:97], 1.0 op_sel_hi:[0,1,0] neg_lo:[1,0,0] neg_hi:[1,0,0]
	v_cndmask_b32_e64 v97, 0, 1.0, s[14:15]
	v_cndmask_b32_e64 v96, 0, 1.0, s[16:17]
	v_pk_mul_f32 v[96:97], v[92:93], v[96:97] op_sel_hi:[0,1]
	v_cndmask_b32_e64 v83, v83, 1.0, s[0:1]
	v_cndmask_b32_e64 v82, v82, 1.0, vcc
	v_pk_fma_f32 v[82:83], v[82:83], v[96:97], v[10:11]
	scratch_load_dwordx2 v[10:11], off, off offset:1744 ; 8-byte Folded Reload
	scratch_load_dwordx2 v[96:97], off, off offset:1752 ; 8-byte Folded Reload
	v_pk_add_f32 v[98:99], v[66:67], v[106:107] op_sel_hi:[1,0] neg_lo:[0,1] neg_hi:[0,1]
	s_waitcnt vmcnt(1)
	v_pk_add_f32 v[10:11], v[10:11], v[104:105] op_sel_hi:[1,0] neg_lo:[0,1] neg_hi:[0,1]
	s_waitcnt vmcnt(0)
	v_pk_add_f32 v[96:97], v[96:97], v[104:105] op_sel:[0,1] neg_lo:[0,1] neg_hi:[0,1]
	s_nop 0
	v_pk_mul_f32 v[96:97], v[96:97], v[96:97]
	s_nop 0
	v_pk_fma_f32 v[10:11], v[10:11], v[10:11], v[96:97]
	s_nop 0
	v_pk_fma_f32 v[10:11], v[98:99], v[98:99], v[10:11]
	s_nop 0
	v_cmp_gt_f32_e32 vcc, s39, v11
	v_mul_f32_e32 v9, 0x4f800000, v11
	s_nop 0
	v_cndmask_b32_e32 v9, v11, v9, vcc
	v_sqrt_f32_e32 v11, v9
	s_nop 0
	v_add_u32_e32 v96, -1, v11
	v_fma_f32 v97, -v96, v11, v9
	v_cmp_ge_f32_e64 s[0:1], 0, v97
	v_add_u32_e32 v97, 1, v11
	s_nop 0
	v_cndmask_b32_e64 v96, v11, v96, s[0:1]
	v_fma_f32 v11, -v97, v11, v9
	v_cmp_lt_f32_e64 s[0:1], 0, v11
	s_nop 1
	v_cndmask_b32_e64 v11, v96, v97, s[0:1]
	v_mul_f32_e32 v96, 0x37800000, v11
	v_cndmask_b32_e32 v11, v11, v96, vcc
	v_cmp_class_f32_e32 vcc, v9, v127
	s_nop 1
	v_cndmask_b32_e32 v11, v11, v9, vcc
	v_cmp_gt_f32_e32 vcc, s39, v10
	v_mul_f32_e32 v9, 0x4f800000, v10
	s_nop 0
	v_cndmask_b32_e32 v9, v10, v9, vcc
	v_sqrt_f32_e32 v10, v9
	s_nop 0
	v_add_u32_e32 v96, -1, v10
	v_fma_f32 v97, -v96, v10, v9
	v_cmp_ge_f32_e64 s[0:1], 0, v97
	v_add_u32_e32 v97, 1, v10
	s_nop 0
	v_cndmask_b32_e64 v96, v10, v96, s[0:1]
	v_fma_f32 v10, -v97, v10, v9
	v_cmp_lt_f32_e64 s[0:1], 0, v10
	s_nop 1
	v_cndmask_b32_e64 v10, v96, v97, s[0:1]
	v_mul_f32_e32 v96, 0x37800000, v10
	v_cndmask_b32_e32 v10, v10, v96, vcc
	v_cmp_class_f32_e32 vcc, v9, v127
	s_nop 1
	v_cndmask_b32_e32 v10, v10, v9, vcc
	v_pk_add_f32 v[96:97], v[10:11], v[8:9] op_sel_hi:[1,0] neg_lo:[0,1] neg_hi:[0,1]
	v_pk_fma_f32 v[10:11], v[126:127], v[10:11], 1.0 op_sel_hi:[0,1,0] neg_lo:[1,0,0] neg_hi:[1,0,0]
	v_cmp_gt_f32_e32 vcc, 0, v96
	v_cmp_gt_f32_e64 s[0:1], 0, v97
	v_cmp_lt_f32_e64 s[14:15], v96, v1
	v_cndmask_b32_e32 v98, 0, v125, vcc
	v_cndmask_b32_e64 v99, 0, v125, s[0:1]
	v_pk_fma_f32 v[10:11], v[10:11], v[98:99], v[76:77]
	v_pk_fma_f32 v[76:77], v[12:13], v[96:97], 1.0 op_sel_hi:[0,1,0] neg_lo:[1,0,0] neg_hi:[1,0,0]
	v_cmp_lt_f32_e64 s[16:17], v97, v1
	v_cndmask_b32_e64 v77, v77, 1.0, s[0:1]
	v_cndmask_b32_e64 v76, v76, 1.0, vcc
	v_cndmask_b32_e64 v99, 0, 1.0, s[16:17]
	v_cndmask_b32_e64 v98, 0, 1.0, s[14:15]
	v_pk_mul_f32 v[76:77], v[98:99], v[76:77]
	v_cmp_lt_f32_e64 s[14:15], v97, v0
	v_pk_mul_f32 v[76:77], v[124:125], v[76:77] op_sel_hi:[0,1]
	v_cmp_lt_f32_e64 s[16:17], v96, v0
	v_cndmask_b32_e64 v77, v77, -|v77|, s[34:35]
	v_cndmask_b32_e64 v76, v76, -|v76|, s[34:35]
	s_and_b64 s[16:17], s[10:11], s[16:17]
	s_and_b64 s[14:15], s[10:11], s[14:15]
	v_pk_fma_f32 v[10:11], v[76:77], s[28:29], v[10:11] op_sel_hi:[1,0,1]
	v_pk_fma_f32 v[76:77], v[14:15], v[96:97], 1.0 op_sel_hi:[0,1,0] neg_lo:[1,0,0] neg_hi:[1,0,0]
	v_cndmask_b32_e64 v97, 0, 1.0, s[14:15]
	v_cndmask_b32_e64 v96, 0, 1.0, s[16:17]
	v_pk_mul_f32 v[96:97], v[92:93], v[96:97] op_sel_hi:[0,1]
	v_cndmask_b32_e64 v77, v77, 1.0, s[0:1]
	v_cndmask_b32_e64 v76, v76, 1.0, vcc
	v_pk_fma_f32 v[76:77], v[76:77], v[96:97], v[10:11]
	scratch_load_dwordx2 v[10:11], off, off offset:1760 ; 8-byte Folded Reload
	scratch_load_dwordx2 v[96:97], off, off offset:1768 ; 8-byte Folded Reload
	v_pk_add_f32 v[98:99], v[68:69], v[106:107] op_sel_hi:[1,0] neg_lo:[0,1] neg_hi:[0,1]
	s_waitcnt vmcnt(1)
	v_pk_add_f32 v[10:11], v[10:11], v[104:105] op_sel_hi:[1,0] neg_lo:[0,1] neg_hi:[0,1]
	s_waitcnt vmcnt(0)
	v_pk_add_f32 v[96:97], v[96:97], v[104:105] op_sel:[0,1] neg_lo:[0,1] neg_hi:[0,1]
	s_nop 0
	v_pk_mul_f32 v[96:97], v[96:97], v[96:97]
	s_nop 0
	v_pk_fma_f32 v[10:11], v[10:11], v[10:11], v[96:97]
	s_nop 0
	v_pk_fma_f32 v[10:11], v[98:99], v[98:99], v[10:11]
	s_nop 0
	v_cmp_gt_f32_e32 vcc, s39, v11
	v_mul_f32_e32 v9, 0x4f800000, v11
	s_nop 0
	v_cndmask_b32_e32 v9, v11, v9, vcc
	v_sqrt_f32_e32 v11, v9
	s_nop 0
	v_add_u32_e32 v96, -1, v11
	v_fma_f32 v97, -v96, v11, v9
	v_cmp_ge_f32_e64 s[0:1], 0, v97
	v_add_u32_e32 v97, 1, v11
	s_nop 0
	v_cndmask_b32_e64 v96, v11, v96, s[0:1]
	v_fma_f32 v11, -v97, v11, v9
	v_cmp_lt_f32_e64 s[0:1], 0, v11
	s_nop 1
	v_cndmask_b32_e64 v11, v96, v97, s[0:1]
	v_mul_f32_e32 v96, 0x37800000, v11
	v_cndmask_b32_e32 v11, v11, v96, vcc
	v_cmp_class_f32_e32 vcc, v9, v127
	s_nop 1
	v_cndmask_b32_e32 v11, v11, v9, vcc
	v_cmp_gt_f32_e32 vcc, s39, v10
	v_mul_f32_e32 v9, 0x4f800000, v10
	s_nop 0
	v_cndmask_b32_e32 v9, v10, v9, vcc
	v_sqrt_f32_e32 v10, v9
	s_nop 0
	v_add_u32_e32 v96, -1, v10
	v_fma_f32 v97, -v96, v10, v9
	v_cmp_ge_f32_e64 s[0:1], 0, v97
	v_add_u32_e32 v97, 1, v10
	s_nop 0
	v_cndmask_b32_e64 v96, v10, v96, s[0:1]
	v_fma_f32 v10, -v97, v10, v9
	v_cmp_lt_f32_e64 s[0:1], 0, v10
	s_nop 1
	v_cndmask_b32_e64 v10, v96, v97, s[0:1]
	v_mul_f32_e32 v96, 0x37800000, v10
	v_cndmask_b32_e32 v10, v10, v96, vcc
	v_cmp_class_f32_e32 vcc, v9, v127
	s_nop 1
	v_cndmask_b32_e32 v10, v10, v9, vcc
	v_pk_add_f32 v[96:97], v[10:11], v[8:9] op_sel_hi:[1,0] neg_lo:[0,1] neg_hi:[0,1]
	v_pk_fma_f32 v[10:11], v[126:127], v[10:11], 1.0 op_sel_hi:[0,1,0] neg_lo:[1,0,0] neg_hi:[1,0,0]
	v_cmp_gt_f32_e32 vcc, 0, v96
	v_cmp_gt_f32_e64 s[0:1], 0, v97
	v_cmp_lt_f32_e64 s[14:15], v96, v1
	v_cndmask_b32_e32 v98, 0, v125, vcc
	v_cndmask_b32_e64 v99, 0, v125, s[0:1]
	v_pk_fma_f32 v[10:11], v[10:11], v[98:99], v[78:79]
	v_pk_fma_f32 v[78:79], v[12:13], v[96:97], 1.0 op_sel_hi:[0,1,0] neg_lo:[1,0,0] neg_hi:[1,0,0]
	v_cmp_lt_f32_e64 s[16:17], v97, v1
	v_cndmask_b32_e64 v79, v79, 1.0, s[0:1]
	v_cndmask_b32_e64 v78, v78, 1.0, vcc
	v_cndmask_b32_e64 v99, 0, 1.0, s[16:17]
	v_cndmask_b32_e64 v98, 0, 1.0, s[14:15]
	v_pk_mul_f32 v[78:79], v[98:99], v[78:79]
	v_cmp_lt_f32_e64 s[14:15], v97, v0
	v_pk_mul_f32 v[78:79], v[124:125], v[78:79] op_sel_hi:[0,1]
	v_cmp_lt_f32_e64 s[16:17], v96, v0
	v_cndmask_b32_e64 v79, v79, -|v79|, s[34:35]
	v_cndmask_b32_e64 v78, v78, -|v78|, s[34:35]
	s_and_b64 s[16:17], s[10:11], s[16:17]
	s_and_b64 s[14:15], s[10:11], s[14:15]
	v_pk_fma_f32 v[10:11], v[78:79], s[28:29], v[10:11] op_sel_hi:[1,0,1]
	v_pk_fma_f32 v[78:79], v[14:15], v[96:97], 1.0 op_sel_hi:[0,1,0] neg_lo:[1,0,0] neg_hi:[1,0,0]
	v_cndmask_b32_e64 v97, 0, 1.0, s[14:15]
	v_cndmask_b32_e64 v96, 0, 1.0, s[16:17]
	v_pk_mul_f32 v[96:97], v[92:93], v[96:97] op_sel_hi:[0,1]
	v_cndmask_b32_e64 v79, v79, 1.0, s[0:1]
	v_cndmask_b32_e64 v78, v78, 1.0, vcc
	v_pk_fma_f32 v[78:79], v[78:79], v[96:97], v[10:11]
	scratch_load_dwordx2 v[10:11], off, off offset:1776 ; 8-byte Folded Reload
	scratch_load_dwordx2 v[96:97], off, off offset:1784 ; 8-byte Folded Reload
	v_pk_add_f32 v[98:99], v[70:71], v[106:107] op_sel_hi:[1,0] neg_lo:[0,1] neg_hi:[0,1]
	s_waitcnt vmcnt(1)
	v_pk_add_f32 v[10:11], v[10:11], v[104:105] op_sel_hi:[1,0] neg_lo:[0,1] neg_hi:[0,1]
	s_waitcnt vmcnt(0)
	v_pk_add_f32 v[96:97], v[96:97], v[104:105] op_sel:[0,1] neg_lo:[0,1] neg_hi:[0,1]
	s_nop 0
	v_pk_mul_f32 v[96:97], v[96:97], v[96:97]
	s_nop 0
	v_pk_fma_f32 v[10:11], v[10:11], v[10:11], v[96:97]
	s_nop 0
	v_pk_fma_f32 v[10:11], v[98:99], v[98:99], v[10:11]
	s_nop 0
	v_cmp_gt_f32_e32 vcc, s39, v11
	v_mul_f32_e32 v9, 0x4f800000, v11
	s_nop 0
	v_cndmask_b32_e32 v9, v11, v9, vcc
	v_sqrt_f32_e32 v11, v9
	s_nop 0
	v_add_u32_e32 v96, -1, v11
	v_fma_f32 v97, -v96, v11, v9
	v_cmp_ge_f32_e64 s[0:1], 0, v97
	v_add_u32_e32 v97, 1, v11
	s_nop 0
	v_cndmask_b32_e64 v96, v11, v96, s[0:1]
	v_fma_f32 v11, -v97, v11, v9
	v_cmp_lt_f32_e64 s[0:1], 0, v11
	s_nop 1
	v_cndmask_b32_e64 v11, v96, v97, s[0:1]
	v_mul_f32_e32 v96, 0x37800000, v11
	v_cndmask_b32_e32 v11, v11, v96, vcc
	v_cmp_class_f32_e32 vcc, v9, v127
	s_nop 1
	v_cndmask_b32_e32 v11, v11, v9, vcc
	v_cmp_gt_f32_e32 vcc, s39, v10
	v_mul_f32_e32 v9, 0x4f800000, v10
	s_nop 0
	v_cndmask_b32_e32 v9, v10, v9, vcc
	v_sqrt_f32_e32 v10, v9
	s_nop 0
	v_add_u32_e32 v96, -1, v10
	v_fma_f32 v97, -v96, v10, v9
	v_cmp_ge_f32_e64 s[0:1], 0, v97
	v_add_u32_e32 v97, 1, v10
	s_nop 0
	v_cndmask_b32_e64 v96, v10, v96, s[0:1]
	v_fma_f32 v10, -v97, v10, v9
	v_cmp_lt_f32_e64 s[0:1], 0, v10
	s_nop 1
	v_cndmask_b32_e64 v10, v96, v97, s[0:1]
	v_mul_f32_e32 v96, 0x37800000, v10
	v_cndmask_b32_e32 v10, v10, v96, vcc
	v_cmp_class_f32_e32 vcc, v9, v127
	s_nop 1
	v_cndmask_b32_e32 v10, v10, v9, vcc
	v_pk_add_f32 v[96:97], v[10:11], v[8:9] op_sel_hi:[1,0] neg_lo:[0,1] neg_hi:[0,1]
	v_pk_fma_f32 v[10:11], v[126:127], v[10:11], 1.0 op_sel_hi:[0,1,0] neg_lo:[1,0,0] neg_hi:[1,0,0]
	v_cmp_gt_f32_e32 vcc, 0, v96
	v_cmp_gt_f32_e64 s[0:1], 0, v97
	v_cmp_lt_f32_e64 s[14:15], v96, v1
	v_cndmask_b32_e32 v98, 0, v125, vcc
	v_cndmask_b32_e64 v99, 0, v125, s[0:1]
	v_pk_fma_f32 v[10:11], v[10:11], v[98:99], v[72:73]
	v_pk_fma_f32 v[72:73], v[12:13], v[96:97], 1.0 op_sel_hi:[0,1,0] neg_lo:[1,0,0] neg_hi:[1,0,0]
	v_cmp_lt_f32_e64 s[16:17], v97, v1
	v_cndmask_b32_e64 v73, v73, 1.0, s[0:1]
	v_cndmask_b32_e64 v72, v72, 1.0, vcc
	v_cndmask_b32_e64 v99, 0, 1.0, s[16:17]
	v_cndmask_b32_e64 v98, 0, 1.0, s[14:15]
	v_pk_mul_f32 v[72:73], v[98:99], v[72:73]
	v_cmp_lt_f32_e64 s[14:15], v97, v0
	v_pk_mul_f32 v[72:73], v[124:125], v[72:73] op_sel_hi:[0,1]
	v_cmp_lt_f32_e64 s[16:17], v96, v0
	v_cndmask_b32_e64 v73, v73, -|v73|, s[34:35]
	v_cndmask_b32_e64 v72, v72, -|v72|, s[34:35]
	s_and_b64 s[16:17], s[10:11], s[16:17]
	s_and_b64 s[14:15], s[10:11], s[14:15]
	v_pk_fma_f32 v[10:11], v[72:73], s[28:29], v[10:11] op_sel_hi:[1,0,1]
	v_pk_fma_f32 v[72:73], v[14:15], v[96:97], 1.0 op_sel_hi:[0,1,0] neg_lo:[1,0,0] neg_hi:[1,0,0]
	v_cndmask_b32_e64 v97, 0, 1.0, s[14:15]
	v_cndmask_b32_e64 v96, 0, 1.0, s[16:17]
	v_pk_mul_f32 v[96:97], v[92:93], v[96:97] op_sel_hi:[0,1]
	v_cndmask_b32_e64 v73, v73, 1.0, s[0:1]
	v_cndmask_b32_e64 v72, v72, 1.0, vcc
	v_pk_fma_f32 v[72:73], v[72:73], v[96:97], v[10:11]
	scratch_load_dwordx2 v[10:11], off, off offset:1792 ; 8-byte Folded Reload
	v_pk_add_f32 v[96:97], v[60:61], v[104:105] op_sel:[0,1] neg_lo:[0,1] neg_hi:[0,1]
	v_pk_add_f32 v[98:99], v[108:109], v[106:107] op_sel_hi:[1,0] neg_lo:[0,1] neg_hi:[0,1]
	v_pk_mul_f32 v[96:97], v[96:97], v[96:97]
	s_waitcnt vmcnt(0)
	v_pk_add_f32 v[10:11], v[10:11], v[104:105] op_sel_hi:[1,0] neg_lo:[0,1] neg_hi:[0,1]
	s_nop 0
	v_pk_fma_f32 v[10:11], v[10:11], v[10:11], v[96:97]
	s_nop 0
	v_pk_fma_f32 v[10:11], v[98:99], v[98:99], v[10:11]
	s_nop 0
	v_cmp_gt_f32_e32 vcc, s39, v11
	v_mul_f32_e32 v9, 0x4f800000, v11
	s_nop 0
	v_cndmask_b32_e32 v9, v11, v9, vcc
	v_sqrt_f32_e32 v11, v9
	s_nop 0
	v_add_u32_e32 v96, -1, v11
	v_fma_f32 v97, -v96, v11, v9
	v_cmp_ge_f32_e64 s[0:1], 0, v97
	v_add_u32_e32 v97, 1, v11
	s_nop 0
	v_cndmask_b32_e64 v96, v11, v96, s[0:1]
	v_fma_f32 v11, -v97, v11, v9
	v_cmp_lt_f32_e64 s[0:1], 0, v11
	s_nop 1
	v_cndmask_b32_e64 v11, v96, v97, s[0:1]
	v_mul_f32_e32 v96, 0x37800000, v11
	v_cndmask_b32_e32 v11, v11, v96, vcc
	v_cmp_class_f32_e32 vcc, v9, v127
	s_nop 1
	v_cndmask_b32_e32 v11, v11, v9, vcc
	v_cmp_gt_f32_e32 vcc, s39, v10
	v_mul_f32_e32 v9, 0x4f800000, v10
	s_nop 0
	v_cndmask_b32_e32 v9, v10, v9, vcc
	v_sqrt_f32_e32 v10, v9
	s_nop 0
	v_add_u32_e32 v96, -1, v10
	v_fma_f32 v97, -v96, v10, v9
	v_cmp_ge_f32_e64 s[0:1], 0, v97
	v_add_u32_e32 v97, 1, v10
	s_nop 0
	v_cndmask_b32_e64 v96, v10, v96, s[0:1]
	v_fma_f32 v10, -v97, v10, v9
	v_cmp_lt_f32_e64 s[0:1], 0, v10
	s_nop 1
	v_cndmask_b32_e64 v10, v96, v97, s[0:1]
	v_mul_f32_e32 v96, 0x37800000, v10
	v_cndmask_b32_e32 v10, v10, v96, vcc
	v_cmp_class_f32_e32 vcc, v9, v127
	s_nop 1
	v_cndmask_b32_e32 v10, v10, v9, vcc
	v_pk_add_f32 v[96:97], v[10:11], v[8:9] op_sel_hi:[1,0] neg_lo:[0,1] neg_hi:[0,1]
	v_pk_fma_f32 v[10:11], v[126:127], v[10:11], 1.0 op_sel_hi:[0,1,0] neg_lo:[1,0,0] neg_hi:[1,0,0]
	v_cmp_gt_f32_e32 vcc, 0, v96
	v_cmp_gt_f32_e64 s[0:1], 0, v97
	v_cmp_lt_f32_e64 s[14:15], v96, v1
	v_cndmask_b32_e32 v98, 0, v125, vcc
	v_cndmask_b32_e64 v99, 0, v125, s[0:1]
	v_pk_fma_f32 v[10:11], v[10:11], v[98:99], v[74:75]
	v_pk_fma_f32 v[74:75], v[12:13], v[96:97], 1.0 op_sel_hi:[0,1,0] neg_lo:[1,0,0] neg_hi:[1,0,0]
	v_cmp_lt_f32_e64 s[16:17], v97, v1
	v_cndmask_b32_e64 v75, v75, 1.0, s[0:1]
	v_cndmask_b32_e64 v74, v74, 1.0, vcc
	v_cndmask_b32_e64 v99, 0, 1.0, s[16:17]
	v_cndmask_b32_e64 v98, 0, 1.0, s[14:15]
	v_pk_mul_f32 v[74:75], v[98:99], v[74:75]
	v_cmp_lt_f32_e64 s[14:15], v97, v0
	v_pk_mul_f32 v[74:75], v[124:125], v[74:75] op_sel_hi:[0,1]
	v_cmp_lt_f32_e64 s[16:17], v96, v0
	v_cndmask_b32_e64 v75, v75, -|v75|, s[34:35]
	v_cndmask_b32_e64 v74, v74, -|v74|, s[34:35]
	s_and_b64 s[16:17], s[10:11], s[16:17]
	s_and_b64 s[14:15], s[10:11], s[14:15]
	v_pk_fma_f32 v[10:11], v[74:75], s[28:29], v[10:11] op_sel_hi:[1,0,1]
	v_pk_fma_f32 v[74:75], v[14:15], v[96:97], 1.0 op_sel_hi:[0,1,0] neg_lo:[1,0,0] neg_hi:[1,0,0]
	v_cndmask_b32_e64 v97, 0, 1.0, s[14:15]
	v_cndmask_b32_e64 v96, 0, 1.0, s[16:17]
	v_pk_mul_f32 v[96:97], v[92:93], v[96:97] op_sel_hi:[0,1]
	v_cndmask_b32_e64 v75, v75, 1.0, s[0:1]
	v_cndmask_b32_e64 v74, v74, 1.0, vcc
	v_pk_fma_f32 v[74:75], v[74:75], v[96:97], v[10:11]
	v_pk_add_f32 v[96:97], v[44:45], v[104:105] op_sel:[0,1] neg_lo:[0,1] neg_hi:[0,1]
	v_pk_add_f32 v[10:11], v[24:25], v[104:105] op_sel_hi:[1,0] neg_lo:[0,1] neg_hi:[0,1]
	v_pk_mul_f32 v[96:97], v[96:97], v[96:97]
	v_pk_add_f32 v[98:99], v[110:111], v[106:107] op_sel_hi:[1,0] neg_lo:[0,1] neg_hi:[0,1]
	v_pk_fma_f32 v[10:11], v[10:11], v[10:11], v[96:97]
	s_nop 0
	v_pk_fma_f32 v[10:11], v[98:99], v[98:99], v[10:11]
	s_nop 0
	v_cmp_gt_f32_e32 vcc, s39, v11
	v_mul_f32_e32 v9, 0x4f800000, v11
	s_nop 0
	v_cndmask_b32_e32 v9, v11, v9, vcc
	v_sqrt_f32_e32 v11, v9
	s_nop 0
	v_add_u32_e32 v96, -1, v11
	v_fma_f32 v97, -v96, v11, v9
	v_cmp_ge_f32_e64 s[0:1], 0, v97
	v_add_u32_e32 v97, 1, v11
	s_nop 0
	v_cndmask_b32_e64 v96, v11, v96, s[0:1]
	v_fma_f32 v11, -v97, v11, v9
	v_cmp_lt_f32_e64 s[0:1], 0, v11
	s_nop 1
	v_cndmask_b32_e64 v11, v96, v97, s[0:1]
	v_mul_f32_e32 v96, 0x37800000, v11
	v_cndmask_b32_e32 v11, v11, v96, vcc
	v_cmp_class_f32_e32 vcc, v9, v127
	s_nop 1
	v_cndmask_b32_e32 v11, v11, v9, vcc
	v_cmp_gt_f32_e32 vcc, s39, v10
	v_mul_f32_e32 v9, 0x4f800000, v10
	s_nop 0
	v_cndmask_b32_e32 v9, v10, v9, vcc
	v_sqrt_f32_e32 v10, v9
	s_nop 0
	v_add_u32_e32 v96, -1, v10
	v_fma_f32 v97, -v96, v10, v9
	v_cmp_ge_f32_e64 s[0:1], 0, v97
	v_add_u32_e32 v97, 1, v10
	s_nop 0
	v_cndmask_b32_e64 v96, v10, v96, s[0:1]
	v_fma_f32 v10, -v97, v10, v9
	v_cmp_lt_f32_e64 s[0:1], 0, v10
	s_nop 1
	v_cndmask_b32_e64 v10, v96, v97, s[0:1]
	v_mul_f32_e32 v96, 0x37800000, v10
	v_cndmask_b32_e32 v10, v10, v96, vcc
	v_cmp_class_f32_e32 vcc, v9, v127
	s_nop 1
	v_cndmask_b32_e32 v10, v10, v9, vcc
	v_pk_add_f32 v[96:97], v[10:11], v[8:9] op_sel_hi:[1,0] neg_lo:[0,1] neg_hi:[0,1]
	v_pk_fma_f32 v[10:11], v[126:127], v[10:11], 1.0 op_sel_hi:[0,1,0] neg_lo:[1,0,0] neg_hi:[1,0,0]
	v_cmp_gt_f32_e32 vcc, 0, v96
	v_cmp_gt_f32_e64 s[0:1], 0, v97
	v_cmp_lt_f32_e64 s[14:15], v96, v1
	v_cndmask_b32_e32 v98, 0, v125, vcc
	v_cndmask_b32_e64 v99, 0, v125, s[0:1]
	v_pk_fma_f32 v[10:11], v[10:11], v[98:99], v[48:49]
	v_pk_fma_f32 v[48:49], v[12:13], v[96:97], 1.0 op_sel_hi:[0,1,0] neg_lo:[1,0,0] neg_hi:[1,0,0]
	v_cmp_lt_f32_e64 s[16:17], v97, v1
	v_cndmask_b32_e64 v49, v49, 1.0, s[0:1]
	v_cndmask_b32_e64 v48, v48, 1.0, vcc
	v_cndmask_b32_e64 v99, 0, 1.0, s[16:17]
	v_cndmask_b32_e64 v98, 0, 1.0, s[14:15]
	v_pk_mul_f32 v[48:49], v[98:99], v[48:49]
	v_cmp_lt_f32_e64 s[14:15], v97, v0
	v_pk_mul_f32 v[48:49], v[124:125], v[48:49] op_sel_hi:[0,1]
	v_cmp_lt_f32_e64 s[16:17], v96, v0
	v_cndmask_b32_e64 v49, v49, -|v49|, s[34:35]
	v_cndmask_b32_e64 v48, v48, -|v48|, s[34:35]
	s_and_b64 s[16:17], s[10:11], s[16:17]
	s_and_b64 s[14:15], s[10:11], s[14:15]
	v_pk_fma_f32 v[10:11], v[48:49], s[28:29], v[10:11] op_sel_hi:[1,0,1]
	v_pk_fma_f32 v[48:49], v[14:15], v[96:97], 1.0 op_sel_hi:[0,1,0] neg_lo:[1,0,0] neg_hi:[1,0,0]
	v_cndmask_b32_e64 v97, 0, 1.0, s[14:15]
	v_cndmask_b32_e64 v96, 0, 1.0, s[16:17]
	v_pk_mul_f32 v[96:97], v[92:93], v[96:97] op_sel_hi:[0,1]
	v_cndmask_b32_e64 v49, v49, 1.0, s[0:1]
	v_cndmask_b32_e64 v48, v48, 1.0, vcc
	v_pk_fma_f32 v[48:49], v[48:49], v[96:97], v[10:11]
	v_pk_add_f32 v[96:97], v[112:113], v[104:105] op_sel:[0,1] neg_lo:[0,1] neg_hi:[0,1]
	v_pk_add_f32 v[10:11], v[6:7], v[104:105] op_sel_hi:[1,0] neg_lo:[0,1] neg_hi:[0,1]
	v_pk_mul_f32 v[96:97], v[96:97], v[96:97]
	v_pk_add_f32 v[98:99], v[120:121], v[106:107] op_sel_hi:[1,0] neg_lo:[0,1] neg_hi:[0,1]
	v_pk_fma_f32 v[10:11], v[10:11], v[10:11], v[96:97]
	s_nop 0
	v_pk_fma_f32 v[10:11], v[98:99], v[98:99], v[10:11]
	s_nop 0
	v_cmp_gt_f32_e32 vcc, s39, v11
	v_mul_f32_e32 v9, 0x4f800000, v11
	s_nop 0
	v_cndmask_b32_e32 v9, v11, v9, vcc
	v_sqrt_f32_e32 v11, v9
	s_nop 0
	v_add_u32_e32 v96, -1, v11
	v_fma_f32 v97, -v96, v11, v9
	v_cmp_ge_f32_e64 s[0:1], 0, v97
	v_add_u32_e32 v97, 1, v11
	s_nop 0
	v_cndmask_b32_e64 v96, v11, v96, s[0:1]
	v_fma_f32 v11, -v97, v11, v9
	v_cmp_lt_f32_e64 s[0:1], 0, v11
	s_nop 1
	v_cndmask_b32_e64 v11, v96, v97, s[0:1]
	v_mul_f32_e32 v96, 0x37800000, v11
	v_cndmask_b32_e32 v11, v11, v96, vcc
	v_cmp_class_f32_e32 vcc, v9, v127
	s_nop 1
	v_cndmask_b32_e32 v11, v11, v9, vcc
	v_cmp_gt_f32_e32 vcc, s39, v10
	v_mul_f32_e32 v9, 0x4f800000, v10
	s_nop 0
	v_cndmask_b32_e32 v9, v10, v9, vcc
	v_sqrt_f32_e32 v10, v9
	s_nop 0
	v_add_u32_e32 v96, -1, v10
	v_fma_f32 v97, -v96, v10, v9
	v_cmp_ge_f32_e64 s[0:1], 0, v97
	v_add_u32_e32 v97, 1, v10
	s_nop 0
	v_cndmask_b32_e64 v96, v10, v96, s[0:1]
	v_fma_f32 v10, -v97, v10, v9
	v_cmp_lt_f32_e64 s[0:1], 0, v10
	s_nop 1
	v_cndmask_b32_e64 v10, v96, v97, s[0:1]
	v_mul_f32_e32 v96, 0x37800000, v10
	v_cndmask_b32_e32 v10, v10, v96, vcc
	v_cmp_class_f32_e32 vcc, v9, v127
	s_nop 1
	v_cndmask_b32_e32 v10, v10, v9, vcc
	v_pk_add_f32 v[96:97], v[10:11], v[8:9] op_sel_hi:[1,0] neg_lo:[0,1] neg_hi:[0,1]
	v_pk_fma_f32 v[10:11], v[126:127], v[10:11], 1.0 op_sel_hi:[0,1,0] neg_lo:[1,0,0] neg_hi:[1,0,0]
	v_cmp_gt_f32_e32 vcc, 0, v96
	v_cmp_gt_f32_e64 s[0:1], 0, v97
	v_cmp_lt_f32_e64 s[14:15], v96, v1
	v_cndmask_b32_e32 v98, 0, v125, vcc
	v_cndmask_b32_e64 v99, 0, v125, s[0:1]
	v_pk_fma_f32 v[10:11], v[10:11], v[98:99], v[50:51]
	v_pk_fma_f32 v[50:51], v[12:13], v[96:97], 1.0 op_sel_hi:[0,1,0] neg_lo:[1,0,0] neg_hi:[1,0,0]
	v_cmp_lt_f32_e64 s[16:17], v97, v1
	v_cndmask_b32_e64 v51, v51, 1.0, s[0:1]
	v_cndmask_b32_e64 v50, v50, 1.0, vcc
	v_cndmask_b32_e64 v99, 0, 1.0, s[16:17]
	v_cndmask_b32_e64 v98, 0, 1.0, s[14:15]
	v_pk_mul_f32 v[50:51], v[98:99], v[50:51]
	v_cmp_lt_f32_e64 s[14:15], v97, v0
	v_pk_mul_f32 v[50:51], v[124:125], v[50:51] op_sel_hi:[0,1]
	v_cmp_lt_f32_e64 s[16:17], v96, v0
	v_cndmask_b32_e64 v51, v51, -|v51|, s[34:35]
	v_cndmask_b32_e64 v50, v50, -|v50|, s[34:35]
	s_and_b64 s[16:17], s[10:11], s[16:17]
	s_and_b64 s[14:15], s[10:11], s[14:15]
	v_pk_fma_f32 v[10:11], v[50:51], s[28:29], v[10:11] op_sel_hi:[1,0,1]
	v_pk_fma_f32 v[50:51], v[14:15], v[96:97], 1.0 op_sel_hi:[0,1,0] neg_lo:[1,0,0] neg_hi:[1,0,0]
	v_cndmask_b32_e64 v97, 0, 1.0, s[14:15]
	v_cndmask_b32_e64 v96, 0, 1.0, s[16:17]
	v_pk_mul_f32 v[96:97], v[92:93], v[96:97] op_sel_hi:[0,1]
	v_cndmask_b32_e64 v51, v51, 1.0, s[0:1]
	v_cndmask_b32_e64 v50, v50, 1.0, vcc
	v_pk_fma_f32 v[50:51], v[50:51], v[96:97], v[10:11]
	v_pk_add_f32 v[96:97], v[16:17], v[104:105] op_sel:[0,1] neg_lo:[0,1] neg_hi:[0,1]
	v_pk_add_f32 v[10:11], v[114:115], v[104:105] op_sel_hi:[1,0] neg_lo:[0,1] neg_hi:[0,1]
	v_pk_mul_f32 v[96:97], v[96:97], v[96:97]
	v_pk_add_f32 v[98:99], v[122:123], v[106:107] op_sel_hi:[1,0] neg_lo:[0,1] neg_hi:[0,1]
	v_pk_fma_f32 v[10:11], v[10:11], v[10:11], v[96:97]
	s_nop 0
	v_pk_fma_f32 v[10:11], v[98:99], v[98:99], v[10:11]
	s_nop 0
	v_cmp_gt_f32_e32 vcc, s39, v11
	v_mul_f32_e32 v9, 0x4f800000, v11
	s_nop 0
	v_cndmask_b32_e32 v9, v11, v9, vcc
	v_sqrt_f32_e32 v11, v9
	s_nop 0
	v_add_u32_e32 v96, -1, v11
	v_fma_f32 v97, -v96, v11, v9
	v_cmp_ge_f32_e64 s[0:1], 0, v97
	v_add_u32_e32 v97, 1, v11
	s_nop 0
	v_cndmask_b32_e64 v96, v11, v96, s[0:1]
	v_fma_f32 v11, -v97, v11, v9
	v_cmp_lt_f32_e64 s[0:1], 0, v11
	s_nop 1
	v_cndmask_b32_e64 v11, v96, v97, s[0:1]
	v_mul_f32_e32 v96, 0x37800000, v11
	v_cndmask_b32_e32 v11, v11, v96, vcc
	v_cmp_class_f32_e32 vcc, v9, v127
	s_nop 1
	v_cndmask_b32_e32 v11, v11, v9, vcc
	v_cmp_gt_f32_e32 vcc, s39, v10
	v_mul_f32_e32 v9, 0x4f800000, v10
	s_nop 0
	v_cndmask_b32_e32 v9, v10, v9, vcc
	v_sqrt_f32_e32 v10, v9
	s_nop 0
	v_add_u32_e32 v96, -1, v10
	v_fma_f32 v97, -v96, v10, v9
	v_cmp_ge_f32_e64 s[0:1], 0, v97
	v_add_u32_e32 v97, 1, v10
	s_nop 0
	v_cndmask_b32_e64 v96, v10, v96, s[0:1]
	v_fma_f32 v10, -v97, v10, v9
	v_cmp_lt_f32_e64 s[0:1], 0, v10
	s_nop 1
	v_cndmask_b32_e64 v10, v96, v97, s[0:1]
	v_mul_f32_e32 v96, 0x37800000, v10
	v_cndmask_b32_e32 v10, v10, v96, vcc
	v_cmp_class_f32_e32 vcc, v9, v127
	s_nop 1
	v_cndmask_b32_e32 v10, v10, v9, vcc
	v_pk_add_f32 v[96:97], v[10:11], v[8:9] op_sel_hi:[1,0] neg_lo:[0,1] neg_hi:[0,1]
	v_pk_fma_f32 v[10:11], v[126:127], v[10:11], 1.0 op_sel_hi:[0,1,0] neg_lo:[1,0,0] neg_hi:[1,0,0]
	v_cmp_gt_f32_e32 vcc, 0, v96
	v_cmp_gt_f32_e64 s[0:1], 0, v97
	v_cmp_lt_f32_e64 s[14:15], v96, v1
	v_cndmask_b32_e32 v98, 0, v125, vcc
	v_cndmask_b32_e64 v99, 0, v125, s[0:1]
	v_pk_fma_f32 v[10:11], v[10:11], v[98:99], v[32:33]
	v_pk_fma_f32 v[32:33], v[12:13], v[96:97], 1.0 op_sel_hi:[0,1,0] neg_lo:[1,0,0] neg_hi:[1,0,0]
	v_cmp_lt_f32_e64 s[16:17], v97, v1
	v_cndmask_b32_e64 v33, v33, 1.0, s[0:1]
	v_cndmask_b32_e64 v32, v32, 1.0, vcc
	v_cndmask_b32_e64 v99, 0, 1.0, s[16:17]
	v_cndmask_b32_e64 v98, 0, 1.0, s[14:15]
	v_pk_mul_f32 v[32:33], v[98:99], v[32:33]
	v_cmp_lt_f32_e64 s[14:15], v97, v0
	v_pk_mul_f32 v[32:33], v[124:125], v[32:33] op_sel_hi:[0,1]
	v_cmp_lt_f32_e64 s[16:17], v96, v0
	v_cndmask_b32_e64 v33, v33, -|v33|, s[34:35]
	v_cndmask_b32_e64 v32, v32, -|v32|, s[34:35]
	s_and_b64 s[16:17], s[10:11], s[16:17]
	s_and_b64 s[14:15], s[10:11], s[14:15]
	v_pk_fma_f32 v[10:11], v[32:33], s[28:29], v[10:11] op_sel_hi:[1,0,1]
	v_pk_fma_f32 v[32:33], v[14:15], v[96:97], 1.0 op_sel_hi:[0,1,0] neg_lo:[1,0,0] neg_hi:[1,0,0]
	v_cndmask_b32_e64 v97, 0, 1.0, s[14:15]
	v_cndmask_b32_e64 v96, 0, 1.0, s[16:17]
	v_pk_mul_f32 v[96:97], v[92:93], v[96:97] op_sel_hi:[0,1]
	v_cndmask_b32_e64 v33, v33, 1.0, s[0:1]
	v_cndmask_b32_e64 v32, v32, 1.0, vcc
	v_pk_fma_f32 v[32:33], v[32:33], v[96:97], v[10:11]
	v_pk_add_f32 v[96:97], v[28:29], v[104:105] op_sel:[0,1] neg_lo:[0,1] neg_hi:[0,1]
	v_pk_add_f32 v[10:11], v[18:19], v[104:105] op_sel_hi:[1,0] neg_lo:[0,1] neg_hi:[0,1]
	v_pk_mul_f32 v[96:97], v[96:97], v[96:97]
	v_pk_add_f32 v[98:99], v[46:47], v[106:107] op_sel_hi:[1,0] neg_lo:[0,1] neg_hi:[0,1]
	v_pk_fma_f32 v[10:11], v[10:11], v[10:11], v[96:97]
	s_nop 0
	v_pk_fma_f32 v[10:11], v[98:99], v[98:99], v[10:11]
	s_nop 0
	v_cmp_gt_f32_e32 vcc, s39, v11
	v_mul_f32_e32 v9, 0x4f800000, v11
	s_nop 0
	v_cndmask_b32_e32 v9, v11, v9, vcc
	v_sqrt_f32_e32 v11, v9
	s_nop 0
	v_add_u32_e32 v96, -1, v11
	v_fma_f32 v97, -v96, v11, v9
	v_cmp_ge_f32_e64 s[0:1], 0, v97
	v_add_u32_e32 v97, 1, v11
	s_nop 0
	v_cndmask_b32_e64 v96, v11, v96, s[0:1]
	v_fma_f32 v11, -v97, v11, v9
	v_cmp_lt_f32_e64 s[0:1], 0, v11
	s_nop 1
	v_cndmask_b32_e64 v11, v96, v97, s[0:1]
	v_mul_f32_e32 v96, 0x37800000, v11
	v_cndmask_b32_e32 v11, v11, v96, vcc
	v_cmp_class_f32_e32 vcc, v9, v127
	s_nop 1
	v_cndmask_b32_e32 v11, v11, v9, vcc
	v_cmp_gt_f32_e32 vcc, s39, v10
	v_mul_f32_e32 v9, 0x4f800000, v10
	s_nop 0
	v_cndmask_b32_e32 v9, v10, v9, vcc
	v_sqrt_f32_e32 v10, v9
	s_nop 0
	v_add_u32_e32 v96, -1, v10
	v_fma_f32 v97, -v96, v10, v9
	v_cmp_ge_f32_e64 s[0:1], 0, v97
	v_add_u32_e32 v97, 1, v10
	s_nop 0
	v_cndmask_b32_e64 v96, v10, v96, s[0:1]
	v_fma_f32 v10, -v97, v10, v9
	v_cmp_lt_f32_e64 s[0:1], 0, v10
	s_nop 1
	v_cndmask_b32_e64 v10, v96, v97, s[0:1]
	v_mul_f32_e32 v96, 0x37800000, v10
	v_cndmask_b32_e32 v10, v10, v96, vcc
	v_cmp_class_f32_e32 vcc, v9, v127
	s_nop 1
	v_cndmask_b32_e32 v10, v10, v9, vcc
	v_pk_add_f32 v[96:97], v[10:11], v[8:9] op_sel_hi:[1,0] neg_lo:[0,1] neg_hi:[0,1]
	v_pk_fma_f32 v[10:11], v[126:127], v[10:11], 1.0 op_sel_hi:[0,1,0] neg_lo:[1,0,0] neg_hi:[1,0,0]
	v_cmp_gt_f32_e32 vcc, 0, v96
	v_cmp_gt_f32_e64 s[0:1], 0, v97
	v_cmp_lt_f32_e64 s[14:15], v96, v1
	v_cndmask_b32_e32 v98, 0, v125, vcc
	v_cndmask_b32_e64 v99, 0, v125, s[0:1]
	v_pk_fma_f32 v[10:11], v[10:11], v[98:99], v[34:35]
	v_pk_fma_f32 v[34:35], v[12:13], v[96:97], 1.0 op_sel_hi:[0,1,0] neg_lo:[1,0,0] neg_hi:[1,0,0]
	v_cmp_lt_f32_e64 s[16:17], v97, v1
	v_cndmask_b32_e64 v35, v35, 1.0, s[0:1]
	v_cndmask_b32_e64 v34, v34, 1.0, vcc
	v_cndmask_b32_e64 v99, 0, 1.0, s[16:17]
	v_cndmask_b32_e64 v98, 0, 1.0, s[14:15]
	v_pk_mul_f32 v[34:35], v[98:99], v[34:35]
	v_cmp_lt_f32_e64 s[14:15], v97, v0
	v_pk_mul_f32 v[34:35], v[124:125], v[34:35] op_sel_hi:[0,1]
	v_cmp_lt_f32_e64 s[16:17], v96, v0
	v_cndmask_b32_e64 v35, v35, -|v35|, s[34:35]
	v_cndmask_b32_e64 v34, v34, -|v34|, s[34:35]
	s_and_b64 s[16:17], s[10:11], s[16:17]
	s_and_b64 s[14:15], s[10:11], s[14:15]
	v_pk_fma_f32 v[10:11], v[34:35], s[28:29], v[10:11] op_sel_hi:[1,0,1]
	v_pk_fma_f32 v[34:35], v[14:15], v[96:97], 1.0 op_sel_hi:[0,1,0] neg_lo:[1,0,0] neg_hi:[1,0,0]
	v_cndmask_b32_e64 v97, 0, 1.0, s[14:15]
	v_cndmask_b32_e64 v96, 0, 1.0, s[16:17]
	v_pk_mul_f32 v[96:97], v[92:93], v[96:97] op_sel_hi:[0,1]
	v_cndmask_b32_e64 v35, v35, 1.0, s[0:1]
	v_cndmask_b32_e64 v34, v34, 1.0, vcc
	v_pk_fma_f32 v[34:35], v[34:35], v[96:97], v[10:11]
	v_pk_add_f32 v[96:97], v[38:39], v[104:105] op_sel:[0,1] neg_lo:[0,1] neg_hi:[0,1]
	v_pk_add_f32 v[10:11], v[30:31], v[104:105] op_sel_hi:[1,0] neg_lo:[0,1] neg_hi:[0,1]
	v_pk_mul_f32 v[96:97], v[96:97], v[96:97]
	v_pk_add_f32 v[98:99], v[52:53], v[106:107] op_sel_hi:[1,0] neg_lo:[0,1] neg_hi:[0,1]
	v_pk_fma_f32 v[10:11], v[10:11], v[10:11], v[96:97]
	s_nop 0
	v_pk_fma_f32 v[10:11], v[98:99], v[98:99], v[10:11]
	s_nop 0
	v_cmp_gt_f32_e32 vcc, s39, v11
	v_mul_f32_e32 v9, 0x4f800000, v11
	s_nop 0
	v_cndmask_b32_e32 v9, v11, v9, vcc
	v_sqrt_f32_e32 v11, v9
	s_nop 0
	v_add_u32_e32 v96, -1, v11
	v_fma_f32 v97, -v96, v11, v9
	v_cmp_ge_f32_e64 s[0:1], 0, v97
	v_add_u32_e32 v97, 1, v11
	s_nop 0
	v_cndmask_b32_e64 v96, v11, v96, s[0:1]
	v_fma_f32 v11, -v97, v11, v9
	v_cmp_lt_f32_e64 s[0:1], 0, v11
	s_nop 1
	v_cndmask_b32_e64 v11, v96, v97, s[0:1]
	v_mul_f32_e32 v96, 0x37800000, v11
	v_cndmask_b32_e32 v11, v11, v96, vcc
	v_cmp_class_f32_e32 vcc, v9, v127
	s_nop 1
	v_cndmask_b32_e32 v11, v11, v9, vcc
	v_cmp_gt_f32_e32 vcc, s39, v10
	v_mul_f32_e32 v9, 0x4f800000, v10
	s_nop 0
	v_cndmask_b32_e32 v9, v10, v9, vcc
	v_sqrt_f32_e32 v10, v9
	s_nop 0
	v_add_u32_e32 v96, -1, v10
	v_fma_f32 v97, -v96, v10, v9
	v_cmp_ge_f32_e64 s[0:1], 0, v97
	v_add_u32_e32 v97, 1, v10
	s_nop 0
	v_cndmask_b32_e64 v96, v10, v96, s[0:1]
	v_fma_f32 v10, -v97, v10, v9
	v_cmp_lt_f32_e64 s[0:1], 0, v10
	s_nop 1
	v_cndmask_b32_e64 v10, v96, v97, s[0:1]
	v_mul_f32_e32 v96, 0x37800000, v10
	v_cndmask_b32_e32 v10, v10, v96, vcc
	v_cmp_class_f32_e32 vcc, v9, v127
	s_nop 1
	v_cndmask_b32_e32 v10, v10, v9, vcc
	v_pk_add_f32 v[96:97], v[10:11], v[8:9] op_sel_hi:[1,0] neg_lo:[0,1] neg_hi:[0,1]
	v_pk_fma_f32 v[10:11], v[126:127], v[10:11], 1.0 op_sel_hi:[0,1,0] neg_lo:[1,0,0] neg_hi:[1,0,0]
	v_cmp_gt_f32_e32 vcc, 0, v96
	v_cmp_gt_f32_e64 s[0:1], 0, v97
	v_cmp_lt_f32_e64 s[14:15], v96, v1
	v_cndmask_b32_e32 v98, 0, v125, vcc
	v_cndmask_b32_e64 v99, 0, v125, s[0:1]
	v_pk_fma_f32 v[10:11], v[10:11], v[98:99], v[20:21]
	v_pk_fma_f32 v[20:21], v[12:13], v[96:97], 1.0 op_sel_hi:[0,1,0] neg_lo:[1,0,0] neg_hi:[1,0,0]
	v_cmp_lt_f32_e64 s[16:17], v97, v1
	v_cndmask_b32_e64 v21, v21, 1.0, s[0:1]
	v_cndmask_b32_e64 v20, v20, 1.0, vcc
	v_cndmask_b32_e64 v99, 0, 1.0, s[16:17]
	v_cndmask_b32_e64 v98, 0, 1.0, s[14:15]
	v_pk_mul_f32 v[20:21], v[98:99], v[20:21]
	v_cmp_lt_f32_e64 s[14:15], v97, v0
	v_pk_mul_f32 v[20:21], v[124:125], v[20:21] op_sel_hi:[0,1]
	v_cmp_lt_f32_e64 s[16:17], v96, v0
	v_cndmask_b32_e64 v21, v21, -|v21|, s[34:35]
	v_cndmask_b32_e64 v20, v20, -|v20|, s[34:35]
	s_and_b64 s[16:17], s[10:11], s[16:17]
	s_and_b64 s[14:15], s[10:11], s[14:15]
	v_pk_fma_f32 v[10:11], v[20:21], s[28:29], v[10:11] op_sel_hi:[1,0,1]
	v_pk_fma_f32 v[20:21], v[14:15], v[96:97], 1.0 op_sel_hi:[0,1,0] neg_lo:[1,0,0] neg_hi:[1,0,0]
	v_cndmask_b32_e64 v97, 0, 1.0, s[14:15]
	v_cndmask_b32_e64 v96, 0, 1.0, s[16:17]
	v_pk_mul_f32 v[96:97], v[92:93], v[96:97] op_sel_hi:[0,1]
	v_cndmask_b32_e64 v21, v21, 1.0, s[0:1]
	v_cndmask_b32_e64 v20, v20, 1.0, vcc
	v_pk_fma_f32 v[20:21], v[20:21], v[96:97], v[10:11]
	v_pk_add_f32 v[96:97], v[42:43], v[104:105] op_sel:[0,1] neg_lo:[0,1] neg_hi:[0,1]
	v_pk_add_f32 v[10:11], v[40:41], v[104:105] op_sel_hi:[1,0] neg_lo:[0,1] neg_hi:[0,1]
	v_pk_mul_f32 v[96:97], v[96:97], v[96:97]
	v_pk_add_f32 v[98:99], v[54:55], v[106:107] op_sel_hi:[1,0] neg_lo:[0,1] neg_hi:[0,1]
	v_pk_fma_f32 v[10:11], v[10:11], v[10:11], v[96:97]
	s_nop 0
	v_pk_fma_f32 v[10:11], v[98:99], v[98:99], v[10:11]
	s_nop 0
	v_cmp_gt_f32_e32 vcc, s39, v11
	v_mul_f32_e32 v9, 0x4f800000, v11
	s_nop 0
	v_cndmask_b32_e32 v9, v11, v9, vcc
	v_sqrt_f32_e32 v11, v9
	s_nop 0
	v_add_u32_e32 v96, -1, v11
	v_fma_f32 v97, -v96, v11, v9
	v_cmp_ge_f32_e64 s[0:1], 0, v97
	v_add_u32_e32 v97, 1, v11
	s_nop 0
	v_cndmask_b32_e64 v96, v11, v96, s[0:1]
	v_fma_f32 v11, -v97, v11, v9
	v_cmp_lt_f32_e64 s[0:1], 0, v11
	s_nop 1
	v_cndmask_b32_e64 v11, v96, v97, s[0:1]
	v_mul_f32_e32 v96, 0x37800000, v11
	v_cndmask_b32_e32 v11, v11, v96, vcc
	v_cmp_class_f32_e32 vcc, v9, v127
	s_nop 1
	v_cndmask_b32_e32 v11, v11, v9, vcc
	v_cmp_gt_f32_e32 vcc, s39, v10
	v_mul_f32_e32 v9, 0x4f800000, v10
	s_nop 0
	v_cndmask_b32_e32 v9, v10, v9, vcc
	v_sqrt_f32_e32 v10, v9
	s_nop 0
	v_add_u32_e32 v96, -1, v10
	v_fma_f32 v97, -v96, v10, v9
	v_cmp_ge_f32_e64 s[0:1], 0, v97
	v_add_u32_e32 v97, 1, v10
	s_nop 0
	v_cndmask_b32_e64 v96, v10, v96, s[0:1]
	v_fma_f32 v10, -v97, v10, v9
	v_cmp_lt_f32_e64 s[0:1], 0, v10
	s_nop 1
	v_cndmask_b32_e64 v10, v96, v97, s[0:1]
	v_mul_f32_e32 v96, 0x37800000, v10
	v_cndmask_b32_e32 v10, v10, v96, vcc
	v_cmp_class_f32_e32 vcc, v9, v127
	s_nop 1
	v_cndmask_b32_e32 v10, v10, v9, vcc
	v_pk_add_f32 v[8:9], v[10:11], v[8:9] op_sel_hi:[1,0] neg_lo:[0,1] neg_hi:[0,1]
	v_pk_fma_f32 v[10:11], v[126:127], v[10:11], 1.0 op_sel_hi:[0,1,0] neg_lo:[1,0,0] neg_hi:[1,0,0]
	v_cmp_gt_f32_e32 vcc, 0, v8
	v_cmp_gt_f32_e64 s[0:1], 0, v9
	v_cmp_lt_f32_e64 s[14:15], v8, v1
	v_cndmask_b32_e32 v96, 0, v125, vcc
	v_cndmask_b32_e64 v97, 0, v125, s[0:1]
	v_pk_fma_f32 v[22:23], v[10:11], v[96:97], v[22:23]
	v_pk_fma_f32 v[10:11], v[12:13], v[8:9], 1.0 op_sel_hi:[0,1,0] neg_lo:[1,0,0] neg_hi:[1,0,0]
	v_cmp_lt_f32_e64 s[16:17], v9, v1
	v_cndmask_b32_e64 v11, v11, 1.0, s[0:1]
	v_cndmask_b32_e64 v10, v10, 1.0, vcc
	v_cndmask_b32_e64 v97, 0, 1.0, s[16:17]
	v_cndmask_b32_e64 v96, 0, 1.0, s[14:15]
	v_pk_mul_f32 v[10:11], v[96:97], v[10:11]
	v_cmp_lt_f32_e64 s[14:15], v9, v0
	v_pk_mul_f32 v[10:11], v[124:125], v[10:11] op_sel_hi:[0,1]
	v_cmp_lt_f32_e64 s[16:17], v8, v0
	v_cndmask_b32_e64 v11, v11, -|v11|, s[34:35]
	v_cndmask_b32_e64 v10, v10, -|v10|, s[34:35]
	s_and_b64 s[16:17], s[10:11], s[16:17]
	s_and_b64 s[10:11], s[10:11], s[14:15]
	v_pk_fma_f32 v[10:11], v[10:11], s[28:29], v[22:23] op_sel_hi:[1,0,1]
	v_pk_fma_f32 v[22:23], v[14:15], v[8:9], 1.0 op_sel_hi:[0,1,0] neg_lo:[1,0,0] neg_hi:[1,0,0]
	v_cndmask_b32_e64 v1, 0, 1.0, s[10:11]
	v_cndmask_b32_e64 v0, 0, 1.0, s[16:17]
	s_add_u32 s30, s30, 16
	v_pk_mul_f32 v[0:1], v[92:93], v[0:1] op_sel_hi:[0,1]
	v_cndmask_b32_e64 v9, v23, 1.0, s[0:1]
	v_cndmask_b32_e64 v8, v22, 1.0, vcc
	s_addc_u32 s31, s31, 0
	s_add_i32 s40, s40, -1
	v_pk_fma_f32 v[22:23], v[8:9], v[0:1], v[10:11]
	s_cmp_lg_u32 s40, 0
	s_cbranch_scc1 .LBB5_28
; %bb.29:                               ;   in Loop: Header=BB5_27 Depth=1
	s_add_i32 s26, s26, 1
	s_cmp_lg_u32 s26, s36
	s_cbranch_scc1 .LBB5_27
; %bb.30:
	scratch_store_dwordx4 off, v[88:91], off
	scratch_store_dwordx4 off, v[84:87], off offset:16
	scratch_store_dwordx4 off, v[80:83], off offset:32
	scratch_store_dwordx4 off, v[76:79], off offset:48
	scratch_store_dwordx4 off, v[72:75], off offset:64
	scratch_store_dwordx4 off, v[48:51], off offset:80
	scratch_store_dwordx4 off, v[32:35], off offset:96
	scratch_store_dwordx4 off, v[20:23], off offset:112
	s_and_saveexec_b64 s[0:1], s[12:13]
	s_cbranch_execz .LBB5_32
; %bb.31:
	scratch_load_dwordx2 v[34:35], off, off offset:3280 ; 8-byte Folded Reload
	scratch_load_dwordx4 v[0:3], off, off offset:76
	scratch_load_dwordx4 v[4:7], off, off offset:92
	;; [unrolled: 1-line block ×3, first 2 shown]
	scratch_load_dword v33, off, off offset:124
	s_waitcnt vmcnt(4)
	v_mov_b32_e32 v35, 0
	v_mul_f32_e32 v14, 0.5, v88
	v_mul_f32_e32 v15, 0.5, v89
	v_mul_f32_e32 v16, 0.5, v90
	v_mul_f32_e32 v17, 0.5, v91
	v_mul_f32_e32 v18, 0.5, v84
	v_mul_f32_e32 v19, 0.5, v85
	v_mul_f32_e32 v20, 0.5, v86
	v_mul_f32_e32 v21, 0.5, v87
	v_mul_f32_e32 v22, 0.5, v80
	v_mul_f32_e32 v23, 0.5, v81
	v_mul_f32_e32 v24, 0.5, v82
	v_mul_f32_e32 v25, 0.5, v83
	v_mul_f32_e32 v26, 0.5, v76
	v_mul_f32_e32 v27, 0.5, v77
	v_mul_f32_e32 v28, 0.5, v78
	v_mul_f32_e32 v29, 0.5, v79
	v_mul_f32_e32 v30, 0.5, v72
	v_mul_f32_e32 v31, 0.5, v73
	v_mul_f32_e32 v32, 0.5, v74
	v_lshl_add_u64 v[12:13], v[34:35], 2, s[20:21]
	v_add_u32_e32 v34, s33, v34
	global_store_dword v[12:13], v14, off
	v_lshl_add_u64 v[12:13], v[34:35], 2, s[20:21]
	v_add_u32_e32 v34, s33, v34
	global_store_dword v[12:13], v15, off
	;; [unrolled: 3-line block ×19, first 2 shown]
	s_waitcnt vmcnt(22)
	v_mul_f32_e32 v0, 0.5, v0
	v_lshl_add_u64 v[12:13], v[34:35], 2, s[20:21]
	v_add_u32_e32 v34, s33, v34
	global_store_dword v[12:13], v0, off
	v_mul_f32_e32 v12, 0.5, v1
	v_lshl_add_u64 v[0:1], v[34:35], 2, s[20:21]
	v_add_u32_e32 v34, s33, v34
	global_store_dword v[0:1], v12, off
	v_mul_f32_e32 v2, 0.5, v2
	v_lshl_add_u64 v[0:1], v[34:35], 2, s[20:21]
	v_add_u32_e32 v34, s33, v34
	global_store_dword v[0:1], v2, off
	v_mul_f32_e32 v2, 0.5, v3
	v_lshl_add_u64 v[0:1], v[34:35], 2, s[20:21]
	v_add_u32_e32 v34, s33, v34
	global_store_dword v[0:1], v2, off
	s_waitcnt vmcnt(25)
	v_mul_f32_e32 v2, 0.5, v4
	v_lshl_add_u64 v[0:1], v[34:35], 2, s[20:21]
	v_add_u32_e32 v34, s33, v34
	global_store_dword v[0:1], v2, off
	v_mul_f32_e32 v2, 0.5, v5
	v_lshl_add_u64 v[0:1], v[34:35], 2, s[20:21]
	v_add_u32_e32 v34, s33, v34
	global_store_dword v[0:1], v2, off
	v_mul_f32_e32 v2, 0.5, v6
	v_lshl_add_u64 v[0:1], v[34:35], 2, s[20:21]
	v_add_u32_e32 v34, s33, v34
	global_store_dword v[0:1], v2, off
	v_mul_f32_e32 v2, 0.5, v7
	v_lshl_add_u64 v[0:1], v[34:35], 2, s[20:21]
	v_add_u32_e32 v34, s33, v34
	global_store_dword v[0:1], v2, off
	s_waitcnt vmcnt(28)
	v_mul_f32_e32 v2, 0.5, v8
	v_lshl_add_u64 v[0:1], v[34:35], 2, s[20:21]
	v_add_u32_e32 v34, s33, v34
	global_store_dword v[0:1], v2, off
	v_mul_f32_e32 v2, 0.5, v9
	v_lshl_add_u64 v[0:1], v[34:35], 2, s[20:21]
	v_add_u32_e32 v34, s33, v34
	global_store_dword v[0:1], v2, off
	v_mul_f32_e32 v2, 0.5, v10
	v_lshl_add_u64 v[0:1], v[34:35], 2, s[20:21]
	v_add_u32_e32 v34, s33, v34
	global_store_dword v[0:1], v2, off
	v_mul_f32_e32 v2, 0.5, v11
	v_lshl_add_u64 v[0:1], v[34:35], 2, s[20:21]
	v_add_u32_e32 v34, s33, v34
	global_store_dword v[0:1], v2, off
	s_waitcnt vmcnt(31)
	v_mul_f32_e32 v2, 0.5, v33
	v_lshl_add_u64 v[0:1], v[34:35], 2, s[20:21]
	global_store_dword v[0:1], v2, off
.LBB5_32:
	s_endpgm
	.section	.rodata,"a",@progbits
	.p2align	6, 0x0
	.amdhsa_kernel _ZL11fasten_mainILm32EEviiPK4AtomS2_PKfS4_S4_S4_S4_S4_PfPK8FFParamsi
		.amdhsa_group_segment_fixed_size 0
		.amdhsa_private_segment_fixed_size 3296
		.amdhsa_kernarg_size 352
		.amdhsa_user_sgpr_count 2
		.amdhsa_user_sgpr_dispatch_ptr 0
		.amdhsa_user_sgpr_queue_ptr 0
		.amdhsa_user_sgpr_kernarg_segment_ptr 1
		.amdhsa_user_sgpr_dispatch_id 0
		.amdhsa_user_sgpr_kernarg_preload_length 0
		.amdhsa_user_sgpr_kernarg_preload_offset 0
		.amdhsa_user_sgpr_private_segment_size 0
		.amdhsa_uses_dynamic_stack 0
		.amdhsa_enable_private_segment 1
		.amdhsa_system_sgpr_workgroup_id_x 1
		.amdhsa_system_sgpr_workgroup_id_y 0
		.amdhsa_system_sgpr_workgroup_id_z 0
		.amdhsa_system_sgpr_workgroup_info 0
		.amdhsa_system_vgpr_workitem_id 0
		.amdhsa_next_free_vgpr 128
		.amdhsa_next_free_sgpr 47
		.amdhsa_accum_offset 128
		.amdhsa_reserve_vcc 1
		.amdhsa_float_round_mode_32 0
		.amdhsa_float_round_mode_16_64 0
		.amdhsa_float_denorm_mode_32 3
		.amdhsa_float_denorm_mode_16_64 3
		.amdhsa_dx10_clamp 1
		.amdhsa_ieee_mode 1
		.amdhsa_fp16_overflow 0
		.amdhsa_tg_split 0
		.amdhsa_exception_fp_ieee_invalid_op 0
		.amdhsa_exception_fp_denorm_src 0
		.amdhsa_exception_fp_ieee_div_zero 0
		.amdhsa_exception_fp_ieee_overflow 0
		.amdhsa_exception_fp_ieee_underflow 0
		.amdhsa_exception_fp_ieee_inexact 0
		.amdhsa_exception_int_div_zero 0
	.end_amdhsa_kernel
	.section	.text._ZL11fasten_mainILm32EEviiPK4AtomS2_PKfS4_S4_S4_S4_S4_PfPK8FFParamsi,"axG",@progbits,_ZL11fasten_mainILm32EEviiPK4AtomS2_PKfS4_S4_S4_S4_S4_PfPK8FFParamsi,comdat
.Lfunc_end5:
	.size	_ZL11fasten_mainILm32EEviiPK4AtomS2_PKfS4_S4_S4_S4_S4_PfPK8FFParamsi, .Lfunc_end5-_ZL11fasten_mainILm32EEviiPK4AtomS2_PKfS4_S4_S4_S4_S4_PfPK8FFParamsi
                                        ; -- End function
	.section	.AMDGPU.csdata,"",@progbits
; Kernel info:
; codeLenInByte = 20992
; NumSgprs: 53
; NumVgprs: 128
; NumAgprs: 0
; TotalNumVgprs: 128
; ScratchSize: 3296
; MemoryBound: 0
; FloatMode: 240
; IeeeMode: 1
; LDSByteSize: 0 bytes/workgroup (compile time only)
; SGPRBlocks: 6
; VGPRBlocks: 15
; NumSGPRsForWavesPerEU: 53
; NumVGPRsForWavesPerEU: 128
; AccumOffset: 128
; Occupancy: 4
; WaveLimiterHint : 1
; COMPUTE_PGM_RSRC2:SCRATCH_EN: 1
; COMPUTE_PGM_RSRC2:USER_SGPR: 2
; COMPUTE_PGM_RSRC2:TRAP_HANDLER: 0
; COMPUTE_PGM_RSRC2:TGID_X_EN: 1
; COMPUTE_PGM_RSRC2:TGID_Y_EN: 0
; COMPUTE_PGM_RSRC2:TGID_Z_EN: 0
; COMPUTE_PGM_RSRC2:TIDIG_COMP_CNT: 0
; COMPUTE_PGM_RSRC3_GFX90A:ACCUM_OFFSET: 31
; COMPUTE_PGM_RSRC3_GFX90A:TG_SPLIT: 0
	.section	.text._ZL11fasten_mainILm64EEviiPK4AtomS2_PKfS4_S4_S4_S4_S4_PfPK8FFParamsi,"axG",@progbits,_ZL11fasten_mainILm64EEviiPK4AtomS2_PKfS4_S4_S4_S4_S4_PfPK8FFParamsi,comdat
	.globl	_ZL11fasten_mainILm64EEviiPK4AtomS2_PKfS4_S4_S4_S4_S4_PfPK8FFParamsi ; -- Begin function _ZL11fasten_mainILm64EEviiPK4AtomS2_PKfS4_S4_S4_S4_S4_PfPK8FFParamsi
	.p2align	8
	.type	_ZL11fasten_mainILm64EEviiPK4AtomS2_PKfS4_S4_S4_S4_S4_PfPK8FFParamsi,@function
_ZL11fasten_mainILm64EEviiPK4AtomS2_PKfS4_S4_S4_S4_S4_PfPK8FFParamsi: ; @_ZL11fasten_mainILm64EEviiPK4AtomS2_PKfS4_S4_S4_S4_S4_PfPK8FFParamsi
; %bb.0:
	s_load_dword s3, s[0:1], 0x6c
	s_load_dword s4, s[0:1], 0x58
	s_load_dwordx16 s[16:31], s[0:1], 0x8
	s_mov_b32 s9, 0
	v_mov_b32_e32 v6, 16
	s_waitcnt lgkmcnt(0)
	s_and_b32 s33, s3, 0xffff
	s_mul_i32 s2, s2, s33
	v_lshl_add_u32 v4, s2, 6, v0
	s_sub_i32 s2, s4, 64
	v_mov_b32_e32 v0, s2
	v_cmp_gt_i32_e64 s[14:15], s4, v4
	v_mov_b32_e32 v2, v4
	s_movk_i32 s2, 0x15d4
	v_cndmask_b32_e64 v0, v0, v4, s[14:15]
	v_ashrrev_i32_e32 v1, 31, v0
	scratch_store_dwordx2 off, v[2:3], s2   ; 8-byte Folded Spill
	v_lshlrev_b64 v[0:1], 2, v[0:1]
	s_lshl_b32 s8, s33, 2
	s_brev_b32 s34, 18
	s_mov_b32 s35, 0xfe5163ab
	s_mov_b32 s36, 0x3c439041
	;; [unrolled: 1-line block ×10, first 2 shown]
	v_mov_b32_e32 v7, 0x3c0881c4
	v_mov_b32_e32 v8, 0xbab64f3b
	;; [unrolled: 1-line block ×3, first 2 shown]
	s_movk_i32 s45, 0x1f8
	v_mov_b32_e32 v9, 0x110
	v_not_b32_e32 v10, 63
	v_not_b32_e32 v11, 31
	v_mov_b32_e32 v12, 0x7fc00000
	s_mov_b32 s46, s9
                                        ; implicit-def: $vgpr2
                                        ; implicit-def: $vgpr2
	;; [unrolled: 1-line block ×3, first 2 shown]
	s_branch .LBB6_2
.LBB6_1:                                ;   in Loop: Header=BB6_2 Depth=1
	s_or_b64 exec, exec, s[2:3]
	v_mul_f32_e32 v28, v27, v27
	v_fmamk_f32 v29, v28, 0xb94c1982, v7
	v_fmaak_f32 v29, v28, v29, 0xbe2aaa9d
	v_mul_f32_e32 v29, v28, v29
	v_fmac_f32_e32 v27, v27, v29
	v_fmamk_f32 v29, v28, 0x37d75334, v8
	v_fmaak_f32 v29, v28, v29, 0x3d2aabf7
	v_fmaak_f32 v29, v28, v29, 0xbf000004
	v_fma_f32 v28, v28, v29, 1.0
	v_and_b32_e32 v29, 1, v26
	v_lshlrev_b32_e32 v26, 30, v26
	v_cmp_eq_u32_e32 vcc, 0, v29
	v_and_b32_e32 v26, 0x80000000, v26
	v_xor_b32_e32 v24, v24, v23
	v_cndmask_b32_e32 v27, v28, v27, vcc
	v_xor_b32_e32 v24, v24, v26
	v_xor_b32_e32 v24, v24, v27
	v_cmp_class_f32_e64 vcc, v23, s45
	v_mul_f32_e32 v23, v22, v22
	s_nop 0
	v_cndmask_b32_e32 v28, v12, v24, vcc
	v_fmamk_f32 v24, v23, 0xb94c1982, v7
	v_fmaak_f32 v24, v23, v24, 0xbe2aaa9d
	v_mul_f32_e32 v24, v23, v24
	v_fmac_f32_e32 v22, v22, v24
	v_fmamk_f32 v24, v23, 0x37d75334, v8
	v_fmaak_f32 v24, v23, v24, 0x3d2aabf7
	v_fmaak_f32 v24, v23, v24, 0xbf000004
	v_fma_f32 v23, v23, v24, 1.0
	v_and_b32_e32 v24, 1, v4
	v_cmp_eq_u32_e64 s[2:3], 0, v24
	v_lshlrev_b32_e32 v4, 30, v4
	v_and_b32_e32 v4, 0x80000000, v4
	v_cndmask_b32_e64 v22, -v22, v23, s[2:3]
	v_mul_f32_e32 v24, v21, v21
	v_xor_b32_e32 v4, v4, v22
	v_fmamk_f32 v22, v24, 0xb94c1982, v7
	v_fmaak_f32 v22, v24, v22, 0xbe2aaa9d
	v_mul_f32_e32 v26, v24, v22
	v_lshl_add_u64 v[22:23], s[26:27], 0, v[0:1]
	global_load_dword v23, v[22:23], off
	v_fmamk_f32 v22, v24, 0x37d75334, v8
	v_fmaak_f32 v22, v24, v22, 0x3d2aabf7
	v_fmaak_f32 v22, v24, v22, 0xbf000004
	v_fma_f32 v22, v24, v22, 1.0
	v_and_b32_e32 v24, 1, v20
	v_fmac_f32_e32 v21, v21, v26
	v_lshl_add_u64 v[26:27], s[28:29], 0, v[0:1]
	v_cmp_eq_u32_e64 s[4:5], 0, v24
	v_lshlrev_b32_e32 v20, 30, v20
	global_load_dword v27, v[26:27], off
	v_cndmask_b32_e64 v22, v22, v21, s[4:5]
	v_and_b32_e32 v24, 0x80000000, v20
	v_lshl_add_u64 v[20:21], s[30:31], 0, v[0:1]
	global_load_dword v29, v[20:21], off
	v_cmp_class_f32_e64 s[2:3], v18, s45
	v_xor_b32_e32 v18, v19, v18
	v_mul_f32_e32 v19, v17, v17
	v_fmamk_f32 v20, v19, 0xb94c1982, v7
	v_fmaak_f32 v20, v19, v20, 0xbe2aaa9d
	v_mul_f32_e32 v20, v19, v20
	v_fmac_f32_e32 v17, v17, v20
	v_fmamk_f32 v20, v19, 0x37d75334, v8
	v_fmaak_f32 v20, v19, v20, 0x3d2aabf7
	v_xor_b32_e32 v18, v18, v24
	v_fmaak_f32 v20, v19, v20, 0xbf000004
	v_xor_b32_e32 v18, v18, v22
	v_fma_f32 v19, v19, v20, 1.0
	v_and_b32_e32 v20, 1, v16
	v_cndmask_b32_e64 v4, v12, v4, s[2:3]
	v_cndmask_b32_e64 v18, v12, v18, s[2:3]
	v_cmp_eq_u32_e64 s[2:3], 0, v20
	v_lshlrev_b32_e32 v16, 30, v16
	v_and_b32_e32 v16, 0x80000000, v16
	v_cndmask_b32_e64 v17, -v17, v19, s[2:3]
	v_xor_b32_e32 v16, v16, v17
	v_cmp_class_f32_e64 s[2:3], v5, s45
	v_xor_b32_e32 v5, v13, v5
	v_lshl_add_u64 v[0:1], v[0:1], 0, s[8:9]
	v_cndmask_b32_e64 v17, v12, v16, s[2:3]
	v_mul_f32_e32 v16, v15, v15
	v_fmamk_f32 v19, v16, 0xb94c1982, v7
	v_fmaak_f32 v19, v16, v19, 0xbe2aaa9d
	v_mul_f32_e32 v19, v16, v19
	v_fmac_f32_e32 v15, v15, v19
	v_fmamk_f32 v19, v16, 0x37d75334, v8
	v_fmaak_f32 v19, v16, v19, 0x3d2aabf7
	v_fmaak_f32 v19, v16, v19, 0xbf000004
	v_fma_f32 v16, v16, v19, 1.0
	v_and_b32_e32 v19, 1, v14
	v_lshlrev_b32_e32 v14, 30, v14
	v_cmp_eq_u32_e64 s[4:5], 0, v19
	v_and_b32_e32 v14, 0x80000000, v14
	v_xor_b32_e32 v5, v5, v14
	v_cndmask_b32_e64 v15, v16, v15, s[4:5]
	v_xor_b32_e32 v5, v5, v15
	v_cndmask_b32_e64 v16, v12, v5, s[2:3]
	v_mul_f32_e32 v5, v25, v25
	v_fmamk_f32 v13, v5, 0xb94c1982, v7
	v_fmaak_f32 v13, v5, v13, 0xbe2aaa9d
	v_mul_f32_e32 v13, v5, v13
	v_fmac_f32_e32 v25, v25, v13
	v_fmamk_f32 v13, v5, 0x37d75334, v8
	v_fmaak_f32 v13, v5, v13, 0x3d2aabf7
	v_fmaak_f32 v13, v5, v13, 0xbf000004
	v_fma_f32 v5, v5, v13, 1.0
	v_and_b32_e32 v13, 1, v2
	v_cmp_eq_u32_e64 s[2:3], 0, v13
	v_lshlrev_b32_e32 v2, 30, v2
	v_and_b32_e32 v2, 0x80000000, v2
	v_cndmask_b32_e64 v5, -v25, v5, s[2:3]
	v_xor_b32_e32 v2, v2, v5
	v_cndmask_b32_e32 v14, v12, v2, vcc
	v_mul_f32_e32 v13, v16, v18
	v_mul_f32_e32 v5, v13, v14
	;; [unrolled: 1-line block ×3, first 2 shown]
	v_pk_add_f32 v[20:21], v[4:5], v[14:15] neg_lo:[0,1] neg_hi:[0,1]
	v_mul_f32_e32 v5, v13, v28
	v_mul_f32_e32 v13, v17, v14
	v_add_u32_e32 v2, s46, v9
	v_mul_f32_e32 v15, v17, v18
	v_pk_add_f32 v[24:25], v[4:5], v[12:13]
	v_mul_f32_e32 v5, v16, v14
	v_mul_f32_e32 v22, v15, v14
	;; [unrolled: 1-line block ×3, first 2 shown]
	v_add_u32_e32 v19, 16, v2
	v_fma_f32 v26, v15, v28, -v5
	v_mul_f32_e32 v24, v4, v28
	v_pk_mul_f32 v[4:5], v[16:17], v[4:5] op_sel_hi:[1,0]
	s_add_i32 s2, s46, 0x110
	v_fmac_f32_e32 v22, v16, v28
	s_waitcnt vmcnt(1)
	scratch_store_dwordx4 v19, v[24:27], off
	v_add_u32_e32 v2, 32, v2
	v_mov_b32_e32 v28, v5
	v_xor_b32_e32 v26, 0x80000000, v18
	v_mov_b32_e32 v27, v4
	s_add_i32 s46, s46, 48
	scratch_store_dwordx4 off, v[20:23], s2
	s_waitcnt vmcnt(2)
	scratch_store_dwordx4 v2, v[26:29], off
	scratch_store_dword v6, v3, off
	s_cmpk_lg_i32 s46, 0xc00
	v_add_u32_e32 v6, 4, v6
	s_cbranch_scc0 .LBB6_26
.LBB6_2:                                ; =>This Inner Loop Header: Depth=1
	v_lshl_add_u64 v[4:5], s[20:21], 0, v[0:1]
	global_load_dword v5, v[4:5], off
                                        ; implicit-def: $vgpr14
                                        ; implicit-def: $vgpr15
	s_waitcnt vmcnt(0)
	v_and_b32_e32 v13, 0x7fffffff, v5
	v_lshrrev_b32_e32 v2, 23, v13
	v_and_b32_e32 v4, 0x7fffff, v13
	v_cmp_nlt_f32_e64 s[10:11], |v5|, s34
	v_add_u32_e32 v18, 0xffffff88, v2
	v_or_b32_e32 v4, 0x800000, v4
	s_and_saveexec_b64 s[2:3], s[10:11]
	s_xor_b64 s[12:13], exec, s[2:3]
	s_cbranch_execz .LBB6_4
; %bb.3:                                ;   in Loop: Header=BB6_2 Depth=1
	v_cmp_lt_u32_e32 vcc, 63, v18
	s_nop 1
	v_cndmask_b32_e32 v2, 0, v10, vcc
	v_add_u32_e32 v2, v2, v18
	v_cmp_lt_u32_e64 s[2:3], 31, v2
	s_nop 1
	v_cndmask_b32_e64 v14, 0, v11, s[2:3]
	v_add_u32_e32 v2, v14, v2
	v_cmp_lt_u32_e64 s[4:5], 31, v2
	s_nop 1
	v_cndmask_b32_e64 v14, 0, v11, s[4:5]
	v_add_u32_e32 v19, v14, v2
	v_mad_u64_u32 v[14:15], s[6:7], v4, s35, 0
	v_mov_b32_e32 v2, v15
	v_mad_u64_u32 v[16:17], s[6:7], v4, s36, v[2:3]
	v_mov_b32_e32 v2, v17
	;; [unrolled: 2-line block ×6, first 2 shown]
	v_mad_u64_u32 v[28:29], s[6:7], v4, s41, v[2:3]
	v_cndmask_b32_e32 v15, v26, v22, vcc
	v_cndmask_b32_e32 v2, v28, v24, vcc
	;; [unrolled: 1-line block ×3, first 2 shown]
	v_cndmask_b32_e64 v17, v2, v15, s[2:3]
	v_cndmask_b32_e64 v2, v21, v2, s[2:3]
	v_cndmask_b32_e32 v21, v24, v20, vcc
	v_cndmask_b32_e64 v15, v15, v21, s[2:3]
	v_cndmask_b32_e32 v16, v22, v16, vcc
	v_cndmask_b32_e64 v2, v2, v17, s[4:5]
	v_cndmask_b32_e64 v17, v17, v15, s[4:5]
	v_sub_u32_e32 v23, 32, v19
	v_cmp_eq_u32_e64 s[6:7], 0, v19
	v_cndmask_b32_e64 v19, v21, v16, s[2:3]
	v_alignbit_b32 v24, v2, v17, v23
	v_cndmask_b32_e64 v15, v15, v19, s[4:5]
	v_cndmask_b32_e32 v14, v20, v14, vcc
	v_cndmask_b32_e64 v2, v24, v2, s[6:7]
	v_alignbit_b32 v21, v17, v15, v23
	v_cndmask_b32_e64 v14, v16, v14, s[2:3]
	v_cndmask_b32_e64 v17, v21, v17, s[6:7]
	v_bfe_u32 v24, v2, 29, 1
	v_cndmask_b32_e64 v14, v19, v14, s[4:5]
	v_alignbit_b32 v21, v2, v17, 30
	v_sub_u32_e32 v25, 0, v24
	v_alignbit_b32 v16, v15, v14, v23
	v_xor_b32_e32 v26, v21, v25
	v_cndmask_b32_e64 v15, v16, v15, s[6:7]
	v_alignbit_b32 v16, v17, v15, 30
	v_ffbh_u32_e32 v17, v26
	v_add_u32_e32 v17, 1, v17
	v_cmp_ne_u32_e32 vcc, v21, v25
	v_alignbit_b32 v14, v15, v14, 30
	v_xor_b32_e32 v16, v16, v25
	v_cndmask_b32_e32 v17, 33, v17, vcc
	v_sub_u32_e32 v19, 32, v17
	v_xor_b32_e32 v14, v14, v25
	v_alignbit_b32 v20, v26, v16, v19
	v_alignbit_b32 v14, v16, v14, v19
	;; [unrolled: 1-line block ×3, first 2 shown]
	v_ffbh_u32_e32 v16, v15
	v_min_u32_e32 v16, 32, v16
	v_lshrrev_b32_e32 v22, 29, v2
	v_sub_u32_e32 v19, 31, v16
	v_alignbit_b32 v14, v15, v14, v19
	v_lshlrev_b32_e32 v15, 31, v22
	v_or_b32_e32 v19, 0x33800000, v15
	v_add_lshl_u32 v16, v16, v17, 23
	v_lshrrev_b32_e32 v14, 9, v14
	v_sub_u32_e32 v16, v19, v16
	v_or_b32_e32 v14, v16, v14
	v_alignbit_b32 v16, v17, v20, 9
	v_or_b32_e32 v15, v16, v15
	v_xor_b32_e32 v15, 1.0, v15
	v_mul_f32_e32 v16, 0x3fc90fda, v15
	v_fma_f32 v17, v15, s42, -v16
	v_fmac_f32_e32 v17, 0x33a22168, v15
	v_fmac_f32_e32 v17, 0x3fc90fda, v14
	v_lshrrev_b32_e32 v2, 30, v2
	v_add_f32_e32 v15, v16, v17
	v_add_u32_e32 v14, v24, v2
.LBB6_4:                                ;   in Loop: Header=BB6_2 Depth=1
	s_or_saveexec_b64 s[2:3], s[12:13]
	v_mul_f32_e64 v2, |v5|, s43
	v_rndne_f32_e32 v2, v2
	s_xor_b64 exec, exec, s[2:3]
; %bb.5:                                ;   in Loop: Header=BB6_2 Depth=1
	v_cvt_i32_f32_e32 v14, v2
	v_fma_f32 v15, v2, s44, |v5|
	v_fmac_f32_e32 v15, 0xb3a22168, v2
	v_fmac_f32_e32 v15, 0xa7c234c4, v2
; %bb.6:                                ;   in Loop: Header=BB6_2 Depth=1
	s_or_b64 exec, exec, s[2:3]
                                        ; implicit-def: $vgpr16
                                        ; implicit-def: $vgpr17
	s_and_saveexec_b64 s[2:3], s[10:11]
	s_xor_b64 s[10:11], exec, s[2:3]
	s_cbranch_execz .LBB6_8
; %bb.7:                                ;   in Loop: Header=BB6_2 Depth=1
	v_cmp_lt_u32_e32 vcc, 63, v18
	s_nop 1
	v_cndmask_b32_e32 v2, 0, v10, vcc
	v_add_u32_e32 v2, v2, v18
	v_cmp_lt_u32_e64 s[2:3], 31, v2
	s_nop 1
	v_cndmask_b32_e64 v16, 0, v11, s[2:3]
	v_add_u32_e32 v2, v16, v2
	v_cmp_lt_u32_e64 s[4:5], 31, v2
	s_nop 1
	v_cndmask_b32_e64 v16, 0, v11, s[4:5]
	v_add_u32_e32 v30, v16, v2
	v_mad_u64_u32 v[16:17], s[6:7], v4, s35, 0
	v_mov_b32_e32 v2, v17
	v_mad_u64_u32 v[18:19], s[6:7], v4, s36, v[2:3]
	v_mov_b32_e32 v2, v19
	;; [unrolled: 2-line block ×6, first 2 shown]
	v_mad_u64_u32 v[28:29], s[6:7], v4, s41, v[2:3]
	v_cndmask_b32_e32 v17, v26, v22, vcc
	v_cndmask_b32_e32 v2, v28, v24, vcc
	;; [unrolled: 1-line block ×3, first 2 shown]
	v_cndmask_b32_e64 v4, v2, v17, s[2:3]
	v_cndmask_b32_e64 v2, v19, v2, s[2:3]
	v_cndmask_b32_e32 v19, v24, v20, vcc
	v_cndmask_b32_e64 v17, v17, v19, s[2:3]
	v_cndmask_b32_e32 v18, v22, v18, vcc
	v_cndmask_b32_e64 v2, v2, v4, s[4:5]
	v_cndmask_b32_e64 v4, v4, v17, s[4:5]
	v_sub_u32_e32 v21, 32, v30
	v_cndmask_b32_e64 v19, v19, v18, s[2:3]
	v_alignbit_b32 v23, v2, v4, v21
	v_cmp_eq_u32_e64 s[6:7], 0, v30
	v_cndmask_b32_e64 v17, v17, v19, s[4:5]
	v_alignbit_b32 v22, v4, v17, v21
	v_cndmask_b32_e64 v2, v23, v2, s[6:7]
	v_cndmask_b32_e32 v16, v20, v16, vcc
	v_cndmask_b32_e64 v4, v22, v4, s[6:7]
	v_bfe_u32 v24, v2, 29, 1
	v_cndmask_b32_e64 v16, v18, v16, s[2:3]
	v_alignbit_b32 v22, v2, v4, 30
	v_sub_u32_e32 v25, 0, v24
	v_cndmask_b32_e64 v16, v19, v16, s[4:5]
	v_xor_b32_e32 v26, v22, v25
	v_alignbit_b32 v18, v17, v16, v21
	v_cndmask_b32_e64 v17, v18, v17, s[6:7]
	v_ffbh_u32_e32 v18, v26
	v_add_u32_e32 v18, 1, v18
	v_cmp_ne_u32_e32 vcc, v22, v25
	v_alignbit_b32 v4, v4, v17, 30
	v_alignbit_b32 v16, v17, v16, 30
	v_cndmask_b32_e32 v18, 33, v18, vcc
	v_xor_b32_e32 v4, v4, v25
	v_sub_u32_e32 v19, 32, v18
	v_xor_b32_e32 v16, v16, v25
	v_alignbit_b32 v20, v26, v4, v19
	v_alignbit_b32 v4, v4, v16, v19
	;; [unrolled: 1-line block ×3, first 2 shown]
	v_ffbh_u32_e32 v17, v16
	v_min_u32_e32 v17, 32, v17
	v_lshrrev_b32_e32 v23, 29, v2
	v_sub_u32_e32 v19, 31, v17
	v_alignbit_b32 v4, v16, v4, v19
	v_lshlrev_b32_e32 v16, 31, v23
	v_or_b32_e32 v19, 0x33800000, v16
	v_add_lshl_u32 v17, v17, v18, 23
	v_lshrrev_b32_e32 v4, 9, v4
	v_sub_u32_e32 v17, v19, v17
	v_or_b32_e32 v4, v17, v4
	v_alignbit_b32 v17, v18, v20, 9
	v_or_b32_e32 v16, v17, v16
	v_xor_b32_e32 v16, 1.0, v16
	v_mul_f32_e32 v17, 0x3fc90fda, v16
	v_fma_f32 v18, v16, s42, -v17
	v_fmac_f32_e32 v18, 0x33a22168, v16
	v_fmac_f32_e32 v18, 0x3fc90fda, v4
	v_lshrrev_b32_e32 v2, 30, v2
	v_add_f32_e32 v17, v17, v18
	v_add_u32_e32 v16, v24, v2
                                        ; implicit-def: $vgpr2
	s_andn2_saveexec_b64 s[2:3], s[10:11]
	s_cbranch_execnz .LBB6_9
	s_branch .LBB6_10
.LBB6_8:                                ;   in Loop: Header=BB6_2 Depth=1
	s_andn2_saveexec_b64 s[2:3], s[10:11]
.LBB6_9:                                ;   in Loop: Header=BB6_2 Depth=1
	v_cvt_i32_f32_e32 v16, v2
	v_fma_f32 v17, v2, s44, |v5|
	v_fmac_f32_e32 v17, 0xb3a22168, v2
	v_fmac_f32_e32 v17, 0xa7c234c4, v2
.LBB6_10:                               ;   in Loop: Header=BB6_2 Depth=1
	s_or_b64 exec, exec, s[2:3]
	v_lshl_add_u64 v[18:19], s[22:23], 0, v[0:1]
	global_load_dword v18, v[18:19], off
                                        ; implicit-def: $vgpr20
                                        ; implicit-def: $vgpr21
	s_waitcnt vmcnt(0)
	v_and_b32_e32 v19, 0x7fffffff, v18
	v_lshrrev_b32_e32 v2, 23, v19
	v_and_b32_e32 v4, 0x7fffff, v19
	v_cmp_nlt_f32_e64 s[10:11], |v18|, s34
	v_add_u32_e32 v24, 0xffffff88, v2
	v_or_b32_e32 v23, 0x800000, v4
	s_and_saveexec_b64 s[2:3], s[10:11]
	s_xor_b64 s[12:13], exec, s[2:3]
	s_cbranch_execz .LBB6_12
; %bb.11:                               ;   in Loop: Header=BB6_2 Depth=1
	v_cmp_lt_u32_e32 vcc, 63, v24
	v_mad_u64_u32 v[20:21], s[6:7], v23, s35, 0
	s_nop 0
	v_cndmask_b32_e32 v2, 0, v10, vcc
	v_add_u32_e32 v2, v2, v24
	v_cmp_lt_u32_e64 s[2:3], 31, v2
	s_nop 1
	v_cndmask_b32_e64 v4, 0, v11, s[2:3]
	v_add_u32_e32 v2, v4, v2
	v_cmp_lt_u32_e64 s[4:5], 31, v2
	s_nop 1
	v_cndmask_b32_e64 v4, 0, v11, s[4:5]
	v_add_u32_e32 v4, v4, v2
	v_mov_b32_e32 v2, v21
	v_mad_u64_u32 v[26:27], s[6:7], v23, s36, v[2:3]
	v_mov_b32_e32 v2, v27
	v_mad_u64_u32 v[28:29], s[6:7], v23, s37, v[2:3]
	;; [unrolled: 2-line block ×6, first 2 shown]
	v_cndmask_b32_e32 v21, v34, v30, vcc
	v_cndmask_b32_e32 v2, v36, v32, vcc
	;; [unrolled: 1-line block ×3, first 2 shown]
	v_cndmask_b32_e64 v22, v2, v21, s[2:3]
	v_cndmask_b32_e64 v2, v25, v2, s[2:3]
	v_cndmask_b32_e32 v25, v32, v28, vcc
	v_cndmask_b32_e64 v21, v21, v25, s[2:3]
	v_sub_u32_e32 v27, 32, v4
	v_cmp_eq_u32_e64 s[6:7], 0, v4
	v_cndmask_b32_e32 v4, v30, v26, vcc
	v_cndmask_b32_e64 v2, v2, v22, s[4:5]
	v_cndmask_b32_e64 v22, v22, v21, s[4:5]
	v_cndmask_b32_e64 v25, v25, v4, s[2:3]
	v_alignbit_b32 v29, v2, v22, v27
	v_cndmask_b32_e64 v21, v21, v25, s[4:5]
	v_cndmask_b32_e32 v20, v28, v20, vcc
	v_cndmask_b32_e64 v2, v29, v2, s[6:7]
	v_alignbit_b32 v26, v22, v21, v27
	v_cndmask_b32_e64 v4, v4, v20, s[2:3]
	v_cndmask_b32_e64 v22, v26, v22, s[6:7]
	v_bfe_u32 v30, v2, 29, 1
	v_cndmask_b32_e64 v4, v25, v4, s[4:5]
	v_alignbit_b32 v26, v2, v22, 30
	v_sub_u32_e32 v31, 0, v30
	v_alignbit_b32 v20, v21, v4, v27
	v_xor_b32_e32 v32, v26, v31
	v_cndmask_b32_e64 v20, v20, v21, s[6:7]
	v_alignbit_b32 v21, v22, v20, 30
	v_ffbh_u32_e32 v22, v32
	v_add_u32_e32 v22, 1, v22
	v_cmp_ne_u32_e32 vcc, v26, v31
	v_alignbit_b32 v4, v20, v4, 30
	v_xor_b32_e32 v21, v21, v31
	v_cndmask_b32_e32 v22, 33, v22, vcc
	v_sub_u32_e32 v25, 32, v22
	v_xor_b32_e32 v4, v4, v31
	v_alignbit_b32 v26, v32, v21, v25
	v_alignbit_b32 v4, v21, v4, v25
	;; [unrolled: 1-line block ×3, first 2 shown]
	v_ffbh_u32_e32 v21, v20
	v_min_u32_e32 v21, 32, v21
	v_lshrrev_b32_e32 v29, 29, v2
	v_sub_u32_e32 v25, 31, v21
	v_alignbit_b32 v4, v20, v4, v25
	v_lshlrev_b32_e32 v20, 31, v29
	v_or_b32_e32 v25, 0x33800000, v20
	v_add_lshl_u32 v21, v21, v22, 23
	v_lshrrev_b32_e32 v4, 9, v4
	v_sub_u32_e32 v21, v25, v21
	v_or_b32_e32 v4, v21, v4
	v_alignbit_b32 v21, v22, v26, 9
	v_or_b32_e32 v20, v21, v20
	v_xor_b32_e32 v20, 1.0, v20
	v_mul_f32_e32 v21, 0x3fc90fda, v20
	v_fma_f32 v22, v20, s42, -v21
	v_fmac_f32_e32 v22, 0x33a22168, v20
	v_fmac_f32_e32 v22, 0x3fc90fda, v4
	v_lshrrev_b32_e32 v2, 30, v2
	v_add_f32_e32 v21, v21, v22
	v_add_u32_e32 v20, v30, v2
.LBB6_12:                               ;   in Loop: Header=BB6_2 Depth=1
	s_or_saveexec_b64 s[2:3], s[12:13]
	v_mul_f32_e64 v2, |v18|, s43
	v_rndne_f32_e32 v2, v2
	s_xor_b64 exec, exec, s[2:3]
; %bb.13:                               ;   in Loop: Header=BB6_2 Depth=1
	v_cvt_i32_f32_e32 v20, v2
	v_fma_f32 v21, v2, s44, |v18|
	v_fmac_f32_e32 v21, 0xb3a22168, v2
	v_fmac_f32_e32 v21, 0xa7c234c4, v2
; %bb.14:                               ;   in Loop: Header=BB6_2 Depth=1
	s_or_b64 exec, exec, s[2:3]
                                        ; implicit-def: $vgpr4
                                        ; implicit-def: $vgpr22
	s_and_saveexec_b64 s[2:3], s[10:11]
	s_xor_b64 s[10:11], exec, s[2:3]
	s_cbranch_execz .LBB6_16
; %bb.15:                               ;   in Loop: Header=BB6_2 Depth=1
	v_cmp_lt_u32_e32 vcc, 63, v24
	s_nop 1
	v_cndmask_b32_e32 v2, 0, v10, vcc
	v_add_u32_e32 v2, v2, v24
	v_cmp_lt_u32_e64 s[2:3], 31, v2
	v_mad_u64_u32 v[24:25], s[6:7], v23, s35, 0
	s_nop 0
	v_cndmask_b32_e64 v4, 0, v11, s[2:3]
	v_add_u32_e32 v2, v4, v2
	v_cmp_lt_u32_e64 s[4:5], 31, v2
	s_nop 1
	v_cndmask_b32_e64 v4, 0, v11, s[4:5]
	v_add_u32_e32 v4, v4, v2
	v_mov_b32_e32 v2, v25
	v_mad_u64_u32 v[26:27], s[6:7], v23, s36, v[2:3]
	v_mov_b32_e32 v2, v27
	v_mad_u64_u32 v[28:29], s[6:7], v23, s37, v[2:3]
	;; [unrolled: 2-line block ×6, first 2 shown]
	v_cndmask_b32_e32 v25, v34, v30, vcc
	v_cndmask_b32_e32 v2, v22, v32, vcc
	;; [unrolled: 1-line block ×3, first 2 shown]
	v_cndmask_b32_e64 v22, v2, v25, s[2:3]
	v_cndmask_b32_e64 v2, v23, v2, s[2:3]
	v_cndmask_b32_e32 v23, v32, v28, vcc
	v_cndmask_b32_e64 v25, v25, v23, s[2:3]
	v_sub_u32_e32 v27, 32, v4
	v_cmp_eq_u32_e64 s[6:7], 0, v4
	v_cndmask_b32_e32 v4, v30, v26, vcc
	v_cndmask_b32_e64 v2, v2, v22, s[4:5]
	v_cndmask_b32_e64 v22, v22, v25, s[4:5]
	;; [unrolled: 1-line block ×3, first 2 shown]
	v_alignbit_b32 v29, v2, v22, v27
	v_cndmask_b32_e64 v25, v25, v23, s[4:5]
	v_cndmask_b32_e64 v2, v29, v2, s[6:7]
	v_alignbit_b32 v26, v22, v25, v27
	v_cndmask_b32_e64 v22, v26, v22, s[6:7]
	v_bfe_u32 v30, v2, 29, 1
	v_cndmask_b32_e32 v24, v28, v24, vcc
	v_alignbit_b32 v26, v2, v22, 30
	v_sub_u32_e32 v31, 0, v30
	v_cndmask_b32_e64 v4, v4, v24, s[2:3]
	v_xor_b32_e32 v32, v26, v31
	v_cndmask_b32_e64 v4, v23, v4, s[4:5]
	v_alignbit_b32 v23, v25, v4, v27
	v_ffbh_u32_e32 v24, v32
	v_cndmask_b32_e64 v23, v23, v25, s[6:7]
	v_add_u32_e32 v24, 1, v24
	v_cmp_ne_u32_e32 vcc, v26, v31
	v_alignbit_b32 v22, v22, v23, 30
	v_alignbit_b32 v4, v23, v4, 30
	v_cndmask_b32_e32 v24, 33, v24, vcc
	v_xor_b32_e32 v22, v22, v31
	v_sub_u32_e32 v25, 32, v24
	v_xor_b32_e32 v4, v4, v31
	v_alignbit_b32 v26, v32, v22, v25
	v_alignbit_b32 v4, v22, v4, v25
	v_alignbit_b32 v22, v26, v4, 9
	v_ffbh_u32_e32 v23, v22
	v_min_u32_e32 v23, 32, v23
	v_lshrrev_b32_e32 v29, 29, v2
	v_sub_u32_e32 v25, 31, v23
	v_alignbit_b32 v4, v22, v4, v25
	v_lshlrev_b32_e32 v22, 31, v29
	v_or_b32_e32 v25, 0x33800000, v22
	v_add_lshl_u32 v23, v23, v24, 23
	v_lshrrev_b32_e32 v4, 9, v4
	v_sub_u32_e32 v23, v25, v23
	v_or_b32_e32 v4, v23, v4
	v_alignbit_b32 v23, v24, v26, 9
	v_or_b32_e32 v22, v23, v22
	v_xor_b32_e32 v22, 1.0, v22
	v_mul_f32_e32 v23, 0x3fc90fda, v22
	v_fma_f32 v24, v22, s42, -v23
	v_fmac_f32_e32 v24, 0x33a22168, v22
	v_fmac_f32_e32 v24, 0x3fc90fda, v4
	v_lshrrev_b32_e32 v2, 30, v2
	v_add_f32_e32 v22, v23, v24
	v_add_u32_e32 v4, v30, v2
                                        ; implicit-def: $vgpr2
	s_andn2_saveexec_b64 s[2:3], s[10:11]
	s_cbranch_execnz .LBB6_17
	s_branch .LBB6_18
.LBB6_16:                               ;   in Loop: Header=BB6_2 Depth=1
	s_andn2_saveexec_b64 s[2:3], s[10:11]
.LBB6_17:                               ;   in Loop: Header=BB6_2 Depth=1
	v_cvt_i32_f32_e32 v4, v2
	v_fma_f32 v22, v2, s44, |v18|
	v_fmac_f32_e32 v22, 0xb3a22168, v2
	v_fmac_f32_e32 v22, 0xa7c234c4, v2
.LBB6_18:                               ;   in Loop: Header=BB6_2 Depth=1
	s_or_b64 exec, exec, s[2:3]
	v_lshl_add_u64 v[24:25], s[24:25], 0, v[0:1]
	global_load_dword v23, v[24:25], off
                                        ; implicit-def: $vgpr26
                                        ; implicit-def: $vgpr27
	s_waitcnt vmcnt(0)
	v_and_b32_e32 v24, 0x7fffffff, v23
	v_lshrrev_b32_e32 v2, 23, v24
	v_and_b32_e32 v25, 0x7fffff, v24
	v_cmp_nlt_f32_e64 s[10:11], |v23|, s34
	v_add_u32_e32 v29, 0xffffff88, v2
	v_or_b32_e32 v28, 0x800000, v25
	s_and_saveexec_b64 s[2:3], s[10:11]
	s_xor_b64 s[12:13], exec, s[2:3]
	s_cbranch_execz .LBB6_20
; %bb.19:                               ;   in Loop: Header=BB6_2 Depth=1
	v_cmp_lt_u32_e32 vcc, 63, v29
	v_mad_u64_u32 v[26:27], s[6:7], v28, s35, 0
	s_nop 0
	v_cndmask_b32_e32 v2, 0, v10, vcc
	v_add_u32_e32 v2, v2, v29
	v_cmp_lt_u32_e64 s[2:3], 31, v2
	s_nop 1
	v_cndmask_b32_e64 v25, 0, v11, s[2:3]
	v_add_u32_e32 v2, v25, v2
	v_cmp_lt_u32_e64 s[4:5], 31, v2
	s_nop 1
	v_cndmask_b32_e64 v25, 0, v11, s[4:5]
	v_add_u32_e32 v25, v25, v2
	v_mov_b32_e32 v2, v27
	v_mad_u64_u32 v[30:31], s[6:7], v28, s36, v[2:3]
	v_mov_b32_e32 v2, v31
	v_mad_u64_u32 v[32:33], s[6:7], v28, s37, v[2:3]
	;; [unrolled: 2-line block ×6, first 2 shown]
	v_cndmask_b32_e32 v27, v38, v34, vcc
	v_cndmask_b32_e32 v2, v40, v36, vcc
	;; [unrolled: 1-line block ×3, first 2 shown]
	v_cndmask_b32_e64 v31, v2, v27, s[2:3]
	v_cndmask_b32_e64 v2, v33, v2, s[2:3]
	v_cndmask_b32_e32 v33, v36, v32, vcc
	v_cndmask_b32_e64 v27, v27, v33, s[2:3]
	v_sub_u32_e32 v35, 32, v25
	v_cmp_eq_u32_e64 s[6:7], 0, v25
	v_cndmask_b32_e32 v25, v34, v30, vcc
	v_cndmask_b32_e64 v2, v2, v31, s[4:5]
	v_cndmask_b32_e64 v31, v31, v27, s[4:5]
	;; [unrolled: 1-line block ×3, first 2 shown]
	v_alignbit_b32 v36, v2, v31, v35
	v_cndmask_b32_e64 v27, v27, v30, s[4:5]
	v_cndmask_b32_e64 v2, v36, v2, s[6:7]
	v_alignbit_b32 v33, v31, v27, v35
	v_cndmask_b32_e64 v31, v33, v31, s[6:7]
	v_bfe_u32 v36, v2, 29, 1
	v_cndmask_b32_e32 v26, v32, v26, vcc
	v_alignbit_b32 v33, v2, v31, 30
	v_sub_u32_e32 v37, 0, v36
	v_cndmask_b32_e64 v25, v25, v26, s[2:3]
	v_xor_b32_e32 v38, v33, v37
	v_cndmask_b32_e64 v25, v30, v25, s[4:5]
	v_alignbit_b32 v26, v27, v25, v35
	v_ffbh_u32_e32 v30, v38
	v_cndmask_b32_e64 v26, v26, v27, s[6:7]
	v_add_u32_e32 v30, 1, v30
	v_cmp_ne_u32_e32 vcc, v33, v37
	v_alignbit_b32 v27, v31, v26, 30
	v_alignbit_b32 v25, v26, v25, 30
	v_cndmask_b32_e32 v30, 33, v30, vcc
	v_xor_b32_e32 v27, v27, v37
	v_sub_u32_e32 v31, 32, v30
	v_xor_b32_e32 v25, v25, v37
	v_alignbit_b32 v32, v38, v27, v31
	v_alignbit_b32 v25, v27, v25, v31
	;; [unrolled: 1-line block ×3, first 2 shown]
	v_ffbh_u32_e32 v27, v26
	v_min_u32_e32 v27, 32, v27
	v_lshrrev_b32_e32 v34, 29, v2
	v_sub_u32_e32 v31, 31, v27
	v_alignbit_b32 v25, v26, v25, v31
	v_lshlrev_b32_e32 v26, 31, v34
	v_or_b32_e32 v31, 0x33800000, v26
	v_add_lshl_u32 v27, v27, v30, 23
	v_lshrrev_b32_e32 v25, 9, v25
	v_sub_u32_e32 v27, v31, v27
	v_or_b32_e32 v25, v27, v25
	v_alignbit_b32 v27, v30, v32, 9
	v_or_b32_e32 v26, v27, v26
	v_xor_b32_e32 v26, 1.0, v26
	v_mul_f32_e32 v27, 0x3fc90fda, v26
	v_fma_f32 v30, v26, s42, -v27
	v_fmac_f32_e32 v30, 0x33a22168, v26
	v_fmac_f32_e32 v30, 0x3fc90fda, v25
	v_lshrrev_b32_e32 v2, 30, v2
	v_add_f32_e32 v27, v27, v30
	v_add_u32_e32 v26, v36, v2
.LBB6_20:                               ;   in Loop: Header=BB6_2 Depth=1
	s_or_saveexec_b64 s[2:3], s[12:13]
	v_mul_f32_e64 v2, |v23|, s43
	v_rndne_f32_e32 v30, v2
	s_xor_b64 exec, exec, s[2:3]
; %bb.21:                               ;   in Loop: Header=BB6_2 Depth=1
	v_cvt_i32_f32_e32 v26, v30
	v_fma_f32 v27, v30, s44, |v23|
	v_fmac_f32_e32 v27, 0xb3a22168, v30
	v_fmac_f32_e32 v27, 0xa7c234c4, v30
; %bb.22:                               ;   in Loop: Header=BB6_2 Depth=1
	s_or_b64 exec, exec, s[2:3]
                                        ; implicit-def: $vgpr2
                                        ; implicit-def: $vgpr25
	s_and_saveexec_b64 s[2:3], s[10:11]
	s_xor_b64 s[10:11], exec, s[2:3]
	s_cbranch_execz .LBB6_24
; %bb.23:                               ;   in Loop: Header=BB6_2 Depth=1
	v_cmp_lt_u32_e32 vcc, 63, v29
	v_mad_u64_u32 v[30:31], s[6:7], v28, s35, 0
	s_nop 0
	v_cndmask_b32_e32 v2, 0, v10, vcc
	v_add_u32_e32 v2, v2, v29
	v_cmp_lt_u32_e64 s[2:3], 31, v2
	s_nop 1
	v_cndmask_b32_e64 v25, 0, v11, s[2:3]
	v_add_u32_e32 v2, v25, v2
	v_cmp_lt_u32_e64 s[4:5], 31, v2
	s_nop 1
	v_cndmask_b32_e64 v25, 0, v11, s[4:5]
	v_add_u32_e32 v25, v25, v2
	v_mov_b32_e32 v2, v31
	v_mad_u64_u32 v[32:33], s[6:7], v28, s36, v[2:3]
	v_mov_b32_e32 v2, v33
	v_mad_u64_u32 v[34:35], s[6:7], v28, s37, v[2:3]
	;; [unrolled: 2-line block ×6, first 2 shown]
	v_cndmask_b32_e32 v31, v40, v36, vcc
	v_cndmask_b32_e32 v2, v28, v38, vcc
	;; [unrolled: 1-line block ×3, first 2 shown]
	v_cndmask_b32_e64 v28, v2, v31, s[2:3]
	v_cndmask_b32_e64 v2, v29, v2, s[2:3]
	v_cndmask_b32_e32 v29, v38, v34, vcc
	v_cndmask_b32_e64 v31, v31, v29, s[2:3]
	v_sub_u32_e32 v33, 32, v25
	v_cmp_eq_u32_e64 s[6:7], 0, v25
	v_cndmask_b32_e32 v25, v36, v32, vcc
	v_cndmask_b32_e64 v2, v2, v28, s[4:5]
	v_cndmask_b32_e64 v28, v28, v31, s[4:5]
	;; [unrolled: 1-line block ×3, first 2 shown]
	v_alignbit_b32 v35, v2, v28, v33
	v_cndmask_b32_e64 v31, v31, v29, s[4:5]
	v_cndmask_b32_e64 v2, v35, v2, s[6:7]
	v_alignbit_b32 v32, v28, v31, v33
	v_cndmask_b32_e64 v28, v32, v28, s[6:7]
	v_bfe_u32 v36, v2, 29, 1
	v_cndmask_b32_e32 v30, v34, v30, vcc
	v_alignbit_b32 v32, v2, v28, 30
	v_sub_u32_e32 v37, 0, v36
	v_cndmask_b32_e64 v25, v25, v30, s[2:3]
	v_xor_b32_e32 v38, v32, v37
	v_cndmask_b32_e64 v25, v29, v25, s[4:5]
	v_alignbit_b32 v29, v31, v25, v33
	v_ffbh_u32_e32 v30, v38
	v_cndmask_b32_e64 v29, v29, v31, s[6:7]
	v_add_u32_e32 v30, 1, v30
	v_cmp_ne_u32_e32 vcc, v32, v37
	v_alignbit_b32 v28, v28, v29, 30
	v_alignbit_b32 v25, v29, v25, 30
	v_cndmask_b32_e32 v30, 33, v30, vcc
	v_xor_b32_e32 v28, v28, v37
	v_sub_u32_e32 v31, 32, v30
	v_xor_b32_e32 v25, v25, v37
	v_alignbit_b32 v32, v38, v28, v31
	v_alignbit_b32 v25, v28, v25, v31
	v_alignbit_b32 v28, v32, v25, 9
	v_ffbh_u32_e32 v29, v28
	v_min_u32_e32 v29, 32, v29
	v_lshrrev_b32_e32 v35, 29, v2
	v_sub_u32_e32 v31, 31, v29
	v_alignbit_b32 v25, v28, v25, v31
	v_lshlrev_b32_e32 v28, 31, v35
	v_or_b32_e32 v31, 0x33800000, v28
	v_add_lshl_u32 v29, v29, v30, 23
	v_lshrrev_b32_e32 v25, 9, v25
	v_sub_u32_e32 v29, v31, v29
	v_or_b32_e32 v25, v29, v25
	v_alignbit_b32 v29, v30, v32, 9
	v_or_b32_e32 v28, v29, v28
	v_xor_b32_e32 v28, 1.0, v28
	v_mul_f32_e32 v29, 0x3fc90fda, v28
	v_fma_f32 v30, v28, s42, -v29
	v_fmac_f32_e32 v30, 0x33a22168, v28
	v_fmac_f32_e32 v30, 0x3fc90fda, v25
	v_lshrrev_b32_e32 v2, 30, v2
	v_add_f32_e32 v25, v29, v30
	v_add_u32_e32 v2, v36, v2
                                        ; implicit-def: $vgpr30
	s_andn2_saveexec_b64 s[2:3], s[10:11]
	s_cbranch_execz .LBB6_1
	s_branch .LBB6_25
.LBB6_24:                               ;   in Loop: Header=BB6_2 Depth=1
	s_andn2_saveexec_b64 s[2:3], s[10:11]
	s_cbranch_execz .LBB6_1
.LBB6_25:                               ;   in Loop: Header=BB6_2 Depth=1
	v_cvt_i32_f32_e32 v2, v30
	v_fma_f32 v25, v30, s44, |v23|
	v_fmac_f32_e32 v25, 0xb3a22168, v30
	v_fmac_f32_e32 v25, 0xa7c234c4, v30
	s_branch .LBB6_1
.LBB6_26:
	s_load_dwordx2 s[2:3], s[0:1], 0x0
	s_load_dwordx4 s[20:23], s[0:1], 0x48
	scratch_load_dwordx3 v[0:2], off, off offset:284
	s_movk_i32 s0, 0x107c
	s_mov_b32 s27, 0
	s_waitcnt lgkmcnt(0)
	s_max_i32 s29, s3, 1
	s_max_i32 s36, s2, 1
	s_add_u32 s24, s16, 8
	s_addc_u32 s25, s17, 0
	s_movk_i32 s37, 0x46
	s_movk_i32 s38, 0x45
	s_mov_b32 s39, 0xf800000
	v_mov_b32_e32 v97, 0x260
	s_mov_b32 s28, 0x42340000
	v_mov_b32_e32 v113, 0x42980000
	s_mov_b32 s26, s27
	s_waitcnt vmcnt(0)
	scratch_store_dwordx3 off, v[0:2], s0   ; 12-byte Folded Spill
	scratch_load_dwordx4 v[0:3], off, off offset:272
	s_nop 0
	scratch_load_dwordx4 v[4:7], off, off offset:300
	scratch_load_dwordx2 v[8:9], off, off offset:296
	scratch_load_dwordx4 v[10:13], off, off offset:316
	scratch_load_dwordx2 v[14:15], off, off offset:312
	scratch_load_dwordx4 v[16:19], off, off offset:332
	scratch_load_dwordx4 v[20:23], off, off offset:348
	scratch_load_dwordx3 v[24:26], off, off offset:364
	s_movk_i32 s0, 0x10e8
	s_waitcnt vmcnt(4)
	v_mov_b32_e32 v3, v13
	s_waitcnt vmcnt(2)
	v_mov_b32_e32 v9, v19
	s_waitcnt vmcnt(1)
	v_mov_b32_e32 v15, v23
	s_waitcnt vmcnt(0)
	scratch_store_dwordx3 off, v[24:26], s0 ; 12-byte Folded Spill
	scratch_load_dwordx3 v[24:26], off, off offset:380
	s_movk_i32 s0, 0x10f4
	v_mov_b32_e32 v7, v22
	s_waitcnt vmcnt(0)
	scratch_store_dwordx3 off, v[24:26], s0 ; 12-byte Folded Spill
	scratch_load_dwordx2 v[24:25], off, off offset:376
	s_nop 0
	scratch_load_dwordx4 v[26:29], off, off offset:396
	scratch_load_dwordx2 v[30:31], off, off offset:392
	scratch_load_dwordx4 v[32:35], off, off offset:412
	scratch_load_dwordx2 v[36:37], off, off offset:408
	scratch_load_dwordx4 v[38:41], off, off offset:428
	scratch_load_dwordx4 v[42:45], off, off offset:444
	scratch_load_dwordx3 v[46:48], off, off offset:460
	s_movk_i32 s0, 0x1158
	s_waitcnt vmcnt(4)
	v_mov_b32_e32 v25, v35
	s_waitcnt vmcnt(2)
	v_mov_b32_e32 v31, v41
	s_waitcnt vmcnt(1)
	v_mov_b32_e32 v37, v45
	s_waitcnt vmcnt(0)
	scratch_store_dwordx3 off, v[46:48], s0 ; 12-byte Folded Spill
	scratch_load_dwordx3 v[46:48], off, off offset:476
	s_movk_i32 s0, 0x1164
	v_mov_b32_e32 v29, v44
	s_waitcnt vmcnt(0)
	scratch_store_dwordx3 off, v[46:48], s0 ; 12-byte Folded Spill
	scratch_load_dwordx2 v[46:47], off, off offset:472
	;; [unrolled: 23-line block ×3, first 2 shown]
	s_nop 0
	scratch_load_dwordx4 v[70:73], off, off offset:588
	scratch_load_dwordx2 v[74:75], off, off offset:584
	scratch_load_dwordx4 v[76:79], off, off offset:604
	scratch_load_dwordx2 v[80:81], off, off offset:600
	scratch_load_dwordx4 v[82:85], off, off offset:620
	scratch_load_dwordx4 v[86:89], off, off offset:636
	scratch_load_dwordx3 v[90:92], off, off offset:652
	s_movk_i32 s0, 0x1238
	s_waitcnt vmcnt(4)
	v_mov_b32_e32 v69, v79
	s_waitcnt vmcnt(2)
	v_mov_b32_e32 v75, v85
	;; [unrolled: 2-line block ×3, first 2 shown]
	s_waitcnt vmcnt(0)
	scratch_store_dwordx3 off, v[90:92], s0 ; 12-byte Folded Spill
	scratch_load_dwordx3 v[90:92], off, off offset:668
	s_movk_i32 s0, 0x1244
	v_mov_b32_e32 v73, v88
	s_waitcnt vmcnt(0)
	scratch_store_dwordx3 off, v[90:92], s0 ; 12-byte Folded Spill
	s_movk_i32 s0, 0x10c0
	scratch_store_dwordx2 off, v[14:15], s0 ; 8-byte Folded Spill
	s_movk_i32 s0, 0x1130
	scratch_store_dwordx2 off, v[36:37], s0 ; 8-byte Folded Spill
	;; [unrolled: 2-line block ×4, first 2 shown]
	v_mov_b64_e32 v[14:15], v[86:87]
	s_movk_i32 s0, 0x1228
	scratch_store_dwordx4 off, v[14:17], s0 ; 16-byte Folded Spill
	s_movk_i32 s0, 0x11e8
	scratch_store_dwordx4 off, v[70:73], s0 ; 16-byte Folded Spill
	v_mov_b64_e32 v[14:15], v[64:65]
	s_movk_i32 s0, 0x11b8
	scratch_store_dwordx4 off, v[14:17], s0 ; 16-byte Folded Spill
	s_movk_i32 s0, 0x1178
	scratch_store_dwordx4 off, v[48:51], s0 ; 16-byte Folded Spill
	v_mov_b64_e32 v[14:15], v[42:43]
	s_movk_i32 s0, 0x1148
	scratch_store_dwordx4 off, v[14:17], s0 ; 16-byte Folded Spill
	s_movk_i32 s0, 0x1108
	scratch_store_dwordx4 off, v[26:29], s0 ; 16-byte Folded Spill
	v_mov_b64_e32 v[14:15], v[20:21]
	s_movk_i32 s0, 0x10d8
	scratch_store_dwordx4 off, v[14:17], s0 ; 16-byte Folded Spill
	s_movk_i32 s0, 0x1098
	scratch_store_dwordx4 off, v[4:7], s0   ; 16-byte Folded Spill
	s_movk_i32 s0, 0x1218
	scratch_load_dwordx2 v[90:91], off, off offset:664
	v_mov_b32_e32 v4, v82
	v_mov_b32_e32 v5, v83
	;; [unrolled: 1-line block ×3, first 2 shown]
	scratch_store_dwordx4 off, v[4:7], s0   ; 16-byte Folded Spill
	s_movk_i32 s0, 0x11f8
	scratch_store_dwordx2 off, v[74:75], s0 ; 8-byte Folded Spill
	v_mov_b32_e32 v4, v76
	v_mov_b32_e32 v5, v77
	v_mov_b32_e32 v6, v78
	s_movk_i32 s0, 0x1200
	scratch_store_dwordx4 off, v[4:7], s0   ; 16-byte Folded Spill
	s_movk_i32 s0, 0x11e0
	scratch_store_dwordx2 off, v[68:69], s0 ; 8-byte Folded Spill
	v_mov_b32_e32 v4, v60
	v_mov_b32_e32 v5, v61
	v_mov_b32_e32 v6, v62
	s_movk_i32 s0, 0x11a8
	;; [unrolled: 7-line block ×5, first 2 shown]
	scratch_store_dwordx4 off, v[4:7], s0   ; 16-byte Folded Spill
	s_movk_i32 s0, 0x1100
	scratch_store_dwordx2 off, v[24:25], s0 ; 8-byte Folded Spill
	s_movk_i32 s0, 0x10c8
	scratch_store_dwordx4 off, v[16:19], s0 ; 16-byte Folded Spill
	s_movk_i32 s0, 0x10a8
	scratch_store_dwordx2 off, v[8:9], s0   ; 8-byte Folded Spill
	s_movk_i32 s0, 0x10b0
	scratch_store_dwordx4 off, v[10:13], s0 ; 16-byte Folded Spill
	s_movk_i32 s0, 0x1088
	scratch_store_dwordx4 off, v[0:3], s0   ; 16-byte Folded Spill
	scratch_load_dwordx4 v[0:3], off, off offset:684
	s_nop 0
	scratch_load_dwordx2 v[4:5], off, off offset:680
	scratch_load_dwordx4 v[6:9], off, off offset:700
	scratch_load_dwordx2 v[10:11], off, off offset:696
	scratch_load_dwordx4 v[12:15], off, off offset:716
	s_movk_i32 s0, 0x1270
	scratch_load_dwordx4 v[16:19], off, off offset:732
	s_waitcnt vmcnt(3)
	v_mov_b32_e32 v91, v9
	scratch_store_dwordx4 off, v[6:9], s0   ; 16-byte Folded Spill
	s_movk_i32 s0, 0x1250
	scratch_store_dwordx2 off, v[90:91], s0 ; 8-byte Folded Spill
	s_waitcnt vmcnt(3)
	v_mov_b32_e32 v6, v12
	v_mov_b32_e32 v7, v13
	;; [unrolled: 1-line block ×3, first 2 shown]
	s_movk_i32 s0, 0x1288
	scratch_store_dwordx4 off, v[6:9], s0   ; 16-byte Folded Spill
	v_mov_b32_e32 v5, v15
	s_movk_i32 s0, 0x1268
	scratch_store_dwordx2 off, v[4:5], s0   ; 8-byte Folded Spill
	scratch_load_dwordx3 v[4:6], off, off offset:748
	s_movk_i32 s0, 0x12a8
	s_waitcnt vmcnt(5)
	v_mov_b32_e32 v3, v18
	v_mov_b32_e32 v11, v19
	s_waitcnt vmcnt(0)
	scratch_store_dwordx3 off, v[4:6], s0   ; 12-byte Folded Spill
	s_movk_i32 s0, 0x1258
	scratch_store_dwordx4 off, v[0:3], s0   ; 16-byte Folded Spill
	scratch_load_dwordx3 v[0:2], off, off offset:764
	s_movk_i32 s0, 0x12b4
	s_waitcnt vmcnt(0)
	scratch_store_dwordx3 off, v[0:2], s0   ; 12-byte Folded Spill
	scratch_load_dwordx2 v[0:1], off, off offset:760
	s_nop 0
	scratch_load_dwordx4 v[2:5], off, off offset:780
	scratch_load_dwordx2 v[6:7], off, off offset:776
	scratch_load_dwordx4 v[12:15], off, off offset:796
	scratch_load_dwordx2 v[8:9], off, off offset:792
	scratch_load_dwordx4 v[20:23], off, off offset:812
	s_movk_i32 s0, 0x12e0
	scratch_load_dwordx4 v[24:27], off, off offset:828
	s_waitcnt vmcnt(3)
	v_mov_b32_e32 v1, v15
	scratch_store_dwordx4 off, v[12:15], s0 ; 16-byte Folded Spill
	s_movk_i32 s0, 0x12c0
	scratch_store_dwordx2 off, v[0:1], s0   ; 8-byte Folded Spill
	s_waitcnt vmcnt(3)
	v_mov_b32_e32 v12, v20
	v_mov_b32_e32 v13, v21
	v_mov_b32_e32 v14, v22
	s_movk_i32 s0, 0x12f8
	scratch_store_dwordx4 off, v[12:15], s0 ; 16-byte Folded Spill
	scratch_load_dwordx3 v[12:14], off, off offset:844
	v_mov_b32_e32 v7, v23
	s_movk_i32 s0, 0x12d8
	scratch_store_dwordx2 off, v[6:7], s0   ; 8-byte Folded Spill
	s_movk_i32 s0, 0x1318
	s_waitcnt vmcnt(5)
	v_mov_b32_e32 v5, v26
	v_mov_b32_e32 v9, v27
	s_waitcnt vmcnt(1)
	scratch_store_dwordx3 off, v[12:14], s0 ; 12-byte Folded Spill
	s_movk_i32 s0, 0x12c8
	scratch_store_dwordx4 off, v[2:5], s0   ; 16-byte Folded Spill
	scratch_load_dwordx3 v[0:2], off, off offset:860
	s_movk_i32 s0, 0x1324
	s_waitcnt vmcnt(0)
	scratch_store_dwordx3 off, v[0:2], s0   ; 12-byte Folded Spill
	scratch_load_dwordx2 v[0:1], off, off offset:856
	s_nop 0
	scratch_load_dwordx4 v[2:5], off, off offset:876
	scratch_load_dwordx2 v[6:7], off, off offset:872
	scratch_load_dwordx4 v[12:15], off, off offset:892
	scratch_load_dwordx2 v[20:21], off, off offset:888
	scratch_load_dwordx4 v[28:31], off, off offset:908
	s_movk_i32 s0, 0x1350
	scratch_load_dwordx4 v[32:35], off, off offset:924
	s_waitcnt vmcnt(3)
	v_mov_b32_e32 v1, v15
	scratch_store_dwordx4 off, v[12:15], s0 ; 16-byte Folded Spill
	s_movk_i32 s0, 0x1330
	scratch_store_dwordx2 off, v[0:1], s0   ; 8-byte Folded Spill
	s_waitcnt vmcnt(3)
	v_mov_b32_e32 v12, v28
	v_mov_b32_e32 v13, v29
	v_mov_b32_e32 v14, v30
	s_movk_i32 s0, 0x1368
	scratch_store_dwordx4 off, v[12:15], s0 ; 16-byte Folded Spill
	scratch_load_dwordx3 v[12:14], off, off offset:940
	v_mov_b32_e32 v7, v31
	s_movk_i32 s0, 0x1348
	scratch_store_dwordx2 off, v[6:7], s0   ; 8-byte Folded Spill
	s_movk_i32 s0, 0x1388
	s_waitcnt vmcnt(5)
	v_mov_b32_e32 v5, v34
	v_mov_b32_e32 v21, v35
	s_waitcnt vmcnt(1)
	scratch_store_dwordx3 off, v[12:14], s0 ; 12-byte Folded Spill
	;; [unrolled: 36-line block ×3, first 2 shown]
	s_movk_i32 s0, 0x13a8
	scratch_store_dwordx4 off, v[2:5], s0   ; 16-byte Folded Spill
	scratch_load_dwordx3 v[0:2], off, off offset:1052
	s_movk_i32 s0, 0x1404
	s_waitcnt vmcnt(0)
	scratch_store_dwordx3 off, v[0:2], s0   ; 12-byte Folded Spill
	scratch_load_dwordx2 v[2:3], off, off offset:1048
	s_nop 0
	scratch_load_dwordx4 v[4:7], off, off offset:1068
	scratch_load_dwordx2 v[12:13], off, off offset:1064
	s_movk_i32 s0, 0x1298
	scratch_store_dwordx4 off, v[16:19], s0 ; 16-byte Folded Spill
	s_movk_i32 s0, 0x1280
	scratch_store_dwordx2 off, v[10:11], s0 ; 8-byte Folded Spill
	s_movk_i32 s0, 0x1308
	scratch_store_dwordx4 off, v[24:27], s0 ; 16-byte Folded Spill
	s_movk_i32 s0, 0x12f0
	scratch_store_dwordx2 off, v[8:9], s0   ; 8-byte Folded Spill
	v_mov_b64_e32 v[0:1], v[32:33]
	s_movk_i32 s0, 0x1378
	s_waitcnt vmcnt(6)
	scratch_store_dwordx4 off, v[0:3], s0   ; 16-byte Folded Spill
	s_movk_i32 s0, 0x1360
	scratch_store_dwordx2 off, v[20:21], s0 ; 8-byte Folded Spill
	v_mov_b64_e32 v[0:1], v[36:37]
	s_movk_i32 s0, 0x13e8
	scratch_store_dwordx4 off, v[0:3], s0   ; 16-byte Folded Spill
	s_movk_i32 s0, 0x13d0
	scratch_store_dwordx2 off, v[22:23], s0 ; 8-byte Folded Spill
	scratch_load_dwordx4 v[8:11], off, off offset:1084
	scratch_load_dwordx2 v[0:1], off, off offset:1080
	scratch_load_dwordx4 v[14:17], off, off offset:1100
	s_movk_i32 s0, 0x1430
	scratch_load_dwordx4 v[18:21], off, off offset:1116
	s_waitcnt vmcnt(3)
	v_mov_b32_e32 v3, v11
	scratch_store_dwordx4 off, v[8:11], s0  ; 16-byte Folded Spill
	s_movk_i32 s0, 0x1410
	scratch_store_dwordx2 off, v[2:3], s0   ; 8-byte Folded Spill
	s_waitcnt vmcnt(3)
	v_mov_b32_e32 v8, v14
	v_mov_b32_e32 v9, v15
	;; [unrolled: 1-line block ×3, first 2 shown]
	s_movk_i32 s0, 0x1448
	scratch_store_dwordx4 off, v[8:11], s0  ; 16-byte Folded Spill
	scratch_load_dwordx3 v[8:10], off, off offset:1132
	v_mov_b32_e32 v13, v17
	s_movk_i32 s0, 0x1428
	scratch_store_dwordx2 off, v[12:13], s0 ; 8-byte Folded Spill
	s_movk_i32 s0, 0x1468
	s_waitcnt vmcnt(5)
	v_mov_b32_e32 v7, v20
	s_waitcnt vmcnt(1)
	scratch_store_dwordx3 off, v[8:10], s0  ; 12-byte Folded Spill
	s_movk_i32 s0, 0x1418
	scratch_store_dwordx4 off, v[4:7], s0   ; 16-byte Folded Spill
	scratch_load_dwordx3 v[2:4], off, off offset:1148
	s_movk_i32 s0, 0x1474
	s_waitcnt vmcnt(0)
	scratch_store_dwordx3 off, v[2:4], s0   ; 12-byte Folded Spill
	scratch_load_dwordx2 v[2:3], off, off offset:1144
	s_nop 0
	scratch_load_dwordx4 v[4:7], off, off offset:1164
	scratch_load_dwordx2 v[8:9], off, off offset:1160
	scratch_load_dwordx4 v[10:13], off, off offset:1180
	scratch_load_dwordx2 v[14:15], off, off offset:1176
	scratch_load_dwordx4 v[22:25], off, off offset:1196
	s_movk_i32 s0, 0x14a0
	scratch_load_dwordx4 v[26:29], off, off offset:1212
	s_waitcnt vmcnt(3)
	v_mov_b32_e32 v3, v13
	scratch_store_dwordx4 off, v[10:13], s0 ; 16-byte Folded Spill
	s_movk_i32 s0, 0x1480
	scratch_store_dwordx2 off, v[2:3], s0   ; 8-byte Folded Spill
	s_waitcnt vmcnt(3)
	v_mov_b32_e32 v10, v22
	v_mov_b32_e32 v11, v23
	;; [unrolled: 1-line block ×3, first 2 shown]
	s_movk_i32 s0, 0x14b8
	scratch_store_dwordx4 off, v[10:13], s0 ; 16-byte Folded Spill
	v_mov_b32_e32 v9, v25
	s_movk_i32 s0, 0x1498
	scratch_store_dwordx2 off, v[8:9], s0   ; 8-byte Folded Spill
	scratch_load_dwordx3 v[8:10], off, off offset:1228
	s_movk_i32 s0, 0x14d8
	s_waitcnt vmcnt(5)
	v_mov_b32_e32 v7, v28
	v_mov_b32_e32 v15, v29
	s_waitcnt vmcnt(0)
	scratch_store_dwordx3 off, v[8:10], s0  ; 12-byte Folded Spill
	s_movk_i32 s0, 0x1488
	scratch_store_dwordx4 off, v[4:7], s0   ; 16-byte Folded Spill
	scratch_load_dwordx3 v[2:4], off, off offset:1244
	s_movk_i32 s0, 0x14e4
	s_waitcnt vmcnt(0)
	scratch_store_dwordx3 off, v[2:4], s0   ; 12-byte Folded Spill
	scratch_load_dwordx2 v[2:3], off, off offset:1240
	s_nop 0
	scratch_load_dwordx4 v[4:7], off, off offset:1260
	scratch_load_dwordx2 v[8:9], off, off offset:1256
	scratch_load_dwordx4 v[10:13], off, off offset:1276
	scratch_load_dwordx2 v[16:17], off, off offset:1272
	scratch_load_dwordx4 v[22:25], off, off offset:1292
	s_movk_i32 s0, 0x1510
	scratch_load_dwordx4 v[30:33], off, off offset:1308
	s_waitcnt vmcnt(3)
	v_mov_b32_e32 v3, v13
	scratch_store_dwordx4 off, v[10:13], s0 ; 16-byte Folded Spill
	s_movk_i32 s0, 0x14f0
	scratch_store_dwordx2 off, v[2:3], s0   ; 8-byte Folded Spill
	s_waitcnt vmcnt(3)
	v_mov_b32_e32 v10, v22
	v_mov_b32_e32 v11, v23
	;; [unrolled: 1-line block ×3, first 2 shown]
	s_movk_i32 s0, 0x1528
	scratch_store_dwordx4 off, v[10:13], s0 ; 16-byte Folded Spill
	v_mov_b32_e32 v9, v25
	s_movk_i32 s0, 0x1508
	scratch_store_dwordx2 off, v[8:9], s0   ; 8-byte Folded Spill
	scratch_load_dwordx3 v[8:10], off, off offset:1324
	s_movk_i32 s0, 0x1548
	s_waitcnt vmcnt(5)
	v_mov_b32_e32 v7, v32
	v_mov_b32_e32 v17, v33
	s_waitcnt vmcnt(0)
	scratch_store_dwordx3 off, v[8:10], s0  ; 12-byte Folded Spill
	s_movk_i32 s0, 0x14f8
	scratch_store_dwordx4 off, v[4:7], s0   ; 16-byte Folded Spill
	scratch_load_dwordx3 v[2:4], off, off offset:1340
	s_movk_i32 s0, 0x1554
	s_waitcnt vmcnt(0)
	scratch_store_dwordx3 off, v[2:4], s0   ; 12-byte Folded Spill
	scratch_load_dwordx2 v[2:3], off, off offset:1336
	s_nop 0
	scratch_load_dwordx4 v[4:7], off, off offset:1356
	scratch_load_dwordx2 v[8:9], off, off offset:1352
	scratch_load_dwordx4 v[10:13], off, off offset:1372
	scratch_load_dwordx2 v[22:23], off, off offset:1368
	scratch_load_dwordx4 v[34:37], off, off offset:1388
	s_movk_i32 s0, 0x1580
	scratch_load_dwordx4 v[38:41], off, off offset:1404
	scratch_load_dword v1, off, off offset:1468
	s_waitcnt vmcnt(4)
	v_mov_b32_e32 v3, v13
	scratch_store_dwordx4 off, v[10:13], s0 ; 16-byte Folded Spill
	s_movk_i32 s0, 0x1560
	scratch_store_dwordx2 off, v[2:3], s0   ; 8-byte Folded Spill
	s_waitcnt vmcnt(4)
	v_mov_b32_e32 v10, v34
	v_mov_b32_e32 v11, v35
	;; [unrolled: 1-line block ×3, first 2 shown]
	s_movk_i32 s0, 0x1598
	scratch_store_dwordx4 off, v[10:13], s0 ; 16-byte Folded Spill
	v_mov_b32_e32 v9, v37
	s_movk_i32 s0, 0x1578
	scratch_store_dwordx2 off, v[8:9], s0   ; 8-byte Folded Spill
	scratch_load_dwordx3 v[8:10], off, off offset:1420
	s_movk_i32 s0, 0x15b8
	s_waitcnt vmcnt(6)
	v_mov_b32_e32 v7, v40
	v_mov_b32_e32 v23, v41
	s_waitcnt vmcnt(0)
	scratch_store_dwordx3 off, v[8:10], s0  ; 12-byte Folded Spill
	s_movk_i32 s0, 0x1568
	scratch_store_dwordx4 off, v[4:7], s0   ; 16-byte Folded Spill
	scratch_load_dwordx3 v[2:4], off, off offset:1436
	s_movk_i32 s0, 0x15c4
	s_waitcnt vmcnt(0)
	scratch_store_dwordx3 off, v[2:4], s0   ; 12-byte Folded Spill
	scratch_load_dwordx2 v[2:3], off, off offset:1432
	s_movk_i32 s0, 0x15d0
	scratch_store_dword off, v1, s0         ; 4-byte Folded Spill
	s_movk_i32 s0, 0x1458
	scratch_store_dwordx4 off, v[18:21], s0 ; 16-byte Folded Spill
	v_mov_b32_e32 v1, v21
	s_movk_i32 s0, 0x1440
	scratch_store_dwordx2 off, v[0:1], s0   ; 8-byte Folded Spill
	s_movk_i32 s0, 0x14c8
	scratch_store_dwordx4 off, v[26:29], s0 ; 16-byte Folded Spill
	s_movk_i32 s0, 0x14b0
	scratch_store_dwordx2 off, v[14:15], s0 ; 8-byte Folded Spill
	v_mov_b64_e32 v[0:1], v[30:31]
	s_movk_i32 s0, 0x1538
	s_waitcnt vmcnt(5)
	scratch_store_dwordx2 off, v[2:3], off offset:4016 ; 8-byte Folded Spill
	scratch_load_dwordx4 v[2:5], off, off offset:1452
	s_waitcnt vmcnt(0)
	scratch_store_dwordx4 off, v[2:5], off offset:4024 ; 16-byte Folded Spill
	scratch_load_dwordx2 v[2:3], off, off offset:1448
	s_waitcnt vmcnt(0)
	scratch_store_dwordx2 off, v[2:3], off offset:4008 ; 8-byte Folded Spill
	scratch_load_dwordx2 v[2:3], off, off offset:1464
	s_waitcnt vmcnt(0)
	scratch_store_dwordx4 off, v[0:3], s0   ; 16-byte Folded Spill
	s_movk_i32 s0, 0x1520
	scratch_store_dwordx2 off, v[16:17], s0 ; 8-byte Folded Spill
	v_mov_b64_e32 v[0:1], v[38:39]
	s_movk_i32 s0, 0x15a8
	scratch_store_dwordx4 off, v[0:3], s0   ; 16-byte Folded Spill
	s_movk_i32 s0, 0x1590
	scratch_store_dwordx2 off, v[2:3], off offset:4040 ; 8-byte Folded Spill
	v_mov_b32_e32 v0, 0
	scratch_store_dwordx2 off, v[22:23], s0 ; 8-byte Folded Spill
.LBB6_27:                               ; =>This Loop Header: Depth=1
                                        ;     Child Loop BB6_28 Depth 2
	s_lshl_b64 s[0:1], s[26:27], 4
	s_add_u32 s0, s18, s0
	s_addc_u32 s1, s19, s1
	scratch_load_dwordx4 v[4:7], off, off offset:1472
	scratch_load_dwordx2 v[2:3], off, off offset:4016 ; 8-byte Folded Reload
	global_load_dwordx4 v[16:19], v0, s[0:1]
	s_movk_i32 s0, 0x1024
	s_mov_b32 s40, s29
	s_mov_b64 s[30:31], s[24:25]
	s_waitcnt vmcnt(1)
	v_mov_b32_e32 v3, v6
	scratch_store_dwordx2 off, v[2:3], off offset:4016 ; 8-byte Folded Spill
	s_waitcnt vmcnt(1)
	v_fma_f32 v1, v16, v4, v7
	v_fmac_f32_e32 v1, v17, v5
	scratch_store_dwordx2 off, v[0:1], off offset:4048 ; 8-byte Folded Spill
	scratch_load_dwordx4 v[4:7], off, off offset:1488
	s_nop 0
	scratch_load_dwordx2 v[0:1], off, off offset:4008 ; 8-byte Folded Reload
	s_waitcnt vmcnt(0)
	v_mov_b32_e32 v1, v6
	scratch_store_dwordx2 off, v[0:1], off offset:4008 ; 8-byte Folded Spill
	v_fma_f32 v1, v16, v4, v7
	v_fmac_f32_e32 v1, v17, v5
	scratch_store_dwordx2 off, v[0:1], off offset:4056 ; 8-byte Folded Spill
	scratch_load_dwordx4 v[4:7], off, off offset:1564
	scratch_load_dwordx4 v[8:11], off, off offset:1520
	;; [unrolled: 1-line block ×3, first 2 shown]
	scratch_load_dwordx2 v[20:21], off, off offset:1560
	s_waitcnt vmcnt(2)
	v_mov_b32_e32 v11, v7
	scratch_load_dwordx4 v[0:3], off, off offset:1548
	s_waitcnt vmcnt(2)
	v_fma_f32 v29, v16, v5, v12
	v_fmac_f32_e32 v29, v17, v6
	s_waitcnt vmcnt(0)
	v_fma_f32 v30, v16, v1, v4
	scratch_load_dwordx4 v[4:7], off, off offset:1596
	s_waitcnt vmcnt(0)
	v_mov_b32_e32 v21, v7
	scratch_store_dwordx2 off, v[20:21], off offset:3692 ; 8-byte Folded Spill
	scratch_load_dwordx3 v[20:22], off, off offset:1612
	v_fma_f32 v1, v16, v13, v4
	v_mov_b32_e32 v3, v6
	v_fmac_f32_e32 v1, v17, v14
	s_waitcnt vmcnt(0)
	v_fma_f32 v31, v16, v5, v20
	scratch_load_dwordx2 v[4:5], off, off offset:1544
	s_waitcnt vmcnt(0)
	v_mov_b32_e32 v5, v15
	scratch_store_dwordx3 off, v[20:22], off offset:3424 ; 12-byte Folded Spill
	scratch_store_dwordx2 off, v[4:5], off offset:3352 ; 8-byte Folded Spill
	scratch_load_dwordx2 v[12:13], off, off offset:1624
	s_nop 0
	scratch_load_dwordx4 v[4:7], off, off offset:1660
	scratch_load_dwordx4 v[20:23], off, off offset:1644
	scratch_load_dwordx2 v[24:25], off, off offset:1656
	s_waitcnt vmcnt(2)
	v_mov_b32_e32 v13, v7
	scratch_store_dwordx2 off, v[12:13], off offset:3360 ; 8-byte Folded Spill
	scratch_load_dwordx4 v[12:15], off, off offset:1676
	s_waitcnt vmcnt(3)
	v_fma_f32 v32, v16, v21, v4
	s_waitcnt vmcnt(0)
	v_fma_f32 v61, v16, v5, v12
	v_fmac_f32_e32 v61, v17, v6
	scratch_load_dwordx4 v[4:7], off, off offset:1692
	s_waitcnt vmcnt(0)
	v_mov_b32_e32 v25, v7
	scratch_store_dwordx2 off, v[24:25], off offset:3700 ; 8-byte Folded Spill
	scratch_load_dwordx3 v[24:26], off, off offset:1708
	v_mov_b32_e32 v23, v6
	scratch_load_dwordx2 v[6:7], off, off offset:1640
	s_waitcnt vmcnt(0)
	v_mov_b32_e32 v7, v15
	v_fma_f32 v33, v16, v5, v24
	v_fma_f32 v5, v16, v13, v4
	scratch_store_dwordx3 off, v[24:26], off offset:3444 ; 12-byte Folded Spill
	scratch_store_dwordx2 off, v[6:7], off offset:3368 ; 8-byte Folded Spill
	v_fmac_f32_e32 v5, v17, v14
	v_mov_b32_e32 v21, v5
	scratch_load_dwordx2 v[12:13], off, off offset:1720
	scratch_load_dwordx4 v[4:7], off, off offset:1756
	scratch_load_dwordx4 v[24:27], off, off offset:1740
	scratch_load_dwordx2 v[36:37], off, off offset:1752
	scratch_load_dwordx3 v[44:46], off, off offset:1724
	scratch_load_dwordx3 v[66:68], off, off offset:1628
	s_waitcnt vmcnt(4)
	v_mov_b32_e32 v13, v7
	scratch_store_dwordx2 off, v[12:13], off offset:3376 ; 8-byte Folded Spill
	scratch_load_dwordx4 v[12:15], off, off offset:1772
	s_waitcnt vmcnt(5)
	v_fma_f32 v34, v16, v25, v4
	s_waitcnt vmcnt(2)
	v_fma_f32 v20, v16, v67, v20
	;; [unrolled: 2-line block ×3, first 2 shown]
	v_fmac_f32_e32 v39, v17, v6
	scratch_load_dwordx4 v[4:7], off, off offset:1788
	s_waitcnt vmcnt(0)
	v_mov_b32_e32 v37, v7
	scratch_store_dwordx2 off, v[36:37], off offset:3708 ; 8-byte Folded Spill
	scratch_load_dwordx3 v[36:38], off, off offset:1804
	v_mov_b32_e32 v27, v6
	scratch_load_dwordx2 v[6:7], off, off offset:1736
	s_waitcnt vmcnt(0)
	v_mov_b32_e32 v7, v15
	scratch_store_dwordx3 off, v[36:38], s0 ; 12-byte Folded Spill
	v_fma_f32 v35, v16, v5, v36
	scratch_load_dwordx3 v[36:38], off, off offset:1532
	v_fma_f32 v5, v16, v13, v4
	v_fmac_f32_e32 v5, v17, v14
	s_movk_i32 s0, 0x1030
	v_fma_f32 v4, v16, v45, v24
	scratch_store_dwordx2 off, v[6:7], off offset:3384 ; 8-byte Folded Spill
	scratch_store_dwordx2 off, v[20:21], s0 ; 8-byte Folded Spill
	scratch_store_dwordx2 off, v[4:5], off offset:3480 ; 8-byte Folded Spill
	s_movk_i32 s0, 0x1038
	s_waitcnt vmcnt(3)
	v_fma_f32 v0, v16, v37, v0
	scratch_store_dwordx2 off, v[0:1], off offset:3488 ; 8-byte Folded Spill
	v_pk_fma_f32 v[0:1], v[16:17], v[2:3], v[30:31] op_sel:[1,0,0]
	scratch_store_dwordx2 off, v[0:1], off offset:3716 ; 8-byte Folded Spill
	v_pk_fma_f32 v[0:1], v[16:17], v[22:23], v[32:33] op_sel:[1,0,0]
	v_fma_f32 v28, v16, v8, v36
	scratch_store_dwordx2 off, v[0:1], off offset:3724 ; 8-byte Folded Spill
	v_pk_fma_f32 v[0:1], v[16:17], v[26:27], v[34:35] op_sel:[1,0,0]
	v_fmac_f32_e32 v28, v17, v9
	scratch_store_dwordx2 off, v[0:1], off offset:3732 ; 8-byte Folded Spill
	v_pk_fma_f32 v[0:1], v[18:19], v[10:11], v[28:29] op_sel_hi:[0,1,1]
	scratch_store_dwordx2 off, v[0:1], off offset:3344 ; 8-byte Folded Spill
	scratch_load_dwordx2 v[0:1], off, off offset:1832
	s_nop 0
	scratch_load_dwordx4 v[4:7], off, off offset:1868
	scratch_load_dwordx4 v[8:11], off, off offset:1884
	;; [unrolled: 1-line block ×3, first 2 shown]
	s_waitcnt vmcnt(2)
	v_mov_b32_e32 v1, v7
	s_waitcnt vmcnt(1)
	v_fma_f32 v3, v16, v5, v8
	scratch_store_dwordx2 off, v[0:1], off offset:3400 ; 8-byte Folded Spill
	v_fmac_f32_e32 v3, v17, v6
	s_waitcnt vmcnt(1)
	v_fma_f32 v23, v16, v13, v4
	scratch_load_dwordx2 v[0:1], off, off offset:1816
	scratch_load_dwordx4 v[4:7], off, off offset:1836
	s_waitcnt vmcnt(1)
	v_mov_b32_e32 v1, v15
	v_fmac_f32_e32 v23, v17, v14
	s_waitcnt vmcnt(0)
	v_mov_b32_e32 v7, v10
	scratch_store_dwordx2 off, v[0:1], off offset:3392 ; 8-byte Folded Spill
	v_fma_f32 v0, v16, v5, v12
	scratch_load_dwordx3 v[12:14], off, off offset:1820
	s_waitcnt vmcnt(0)
	v_fma_f32 v2, v16, v13, v4
	scratch_store_dwordx2 off, v[2:3], off offset:3536 ; 8-byte Folded Spill
	scratch_store_dwordx3 off, v[12:14], off offset:3524 ; 12-byte Folded Spill
	scratch_load_dwordx3 v[2:4], off, off offset:1900
	s_waitcnt vmcnt(0)
	v_fma_f32 v1, v16, v9, v2
	v_pk_fma_f32 v[0:1], v[16:17], v[6:7], v[0:1] op_sel:[1,0,0]
	scratch_store_dwordx2 off, v[0:1], off offset:3740 ; 8-byte Folded Spill
	scratch_load_dwordx2 v[0:1], off, off offset:1848
	s_waitcnt vmcnt(0)
	v_mov_b32_e32 v1, v11
	scratch_store_dwordx3 off, v[2:4], off offset:3512 ; 12-byte Folded Spill
	scratch_store_dwordx2 off, v[0:1], off offset:3748 ; 8-byte Folded Spill
	scratch_load_dwordx4 v[4:7], off, off offset:1980
	s_nop 0
	scratch_load_dwordx4 v[8:11], off, off offset:1964
	s_waitcnt vmcnt(0)
	v_fma_f32 v1, v16, v9, v4
	v_fmac_f32_e32 v1, v17, v10
	v_mov_b32_e32 v3, v1
	scratch_load_dwordx2 v[0:1], off, off offset:1928
	s_waitcnt vmcnt(0)
	v_mov_b32_e32 v1, v11
	scratch_load_dwordx4 v[10:13], off, off offset:1948
	s_nop 0
	scratch_store_dwordx2 off, v[0:1], off offset:3416 ; 8-byte Folded Spill
	scratch_load_dwordx2 v[0:1], off, off offset:1912
	s_waitcnt vmcnt(2)
	v_fma_f32 v27, v16, v11, v8
	v_fmac_f32_e32 v27, v17, v12
	s_waitcnt vmcnt(0)
	v_mov_b32_e32 v1, v13
	scratch_load_dwordx4 v[12:15], off, off offset:1932
	s_waitcnt vmcnt(0)
	v_mov_b32_e32 v15, v6
	scratch_store_dwordx2 off, v[0:1], off offset:3408 ; 8-byte Folded Spill
	v_fma_f32 v0, v16, v13, v10
	scratch_load_dwordx3 v[8:10], off, off offset:1916
	s_waitcnt vmcnt(0)
	v_fma_f32 v2, v16, v9, v12
	scratch_store_dwordx2 off, v[2:3], off offset:3584 ; 8-byte Folded Spill
	scratch_store_dwordx3 off, v[8:10], off offset:3560 ; 12-byte Folded Spill
	scratch_load_dwordx3 v[2:4], off, off offset:1996
	s_waitcnt vmcnt(0)
	v_fma_f32 v1, v16, v5, v2
	v_pk_fma_f32 v[0:1], v[16:17], v[14:15], v[0:1] op_sel:[1,0,0]
	scratch_store_dwordx2 off, v[0:1], off offset:3756 ; 8-byte Folded Spill
	scratch_load_dwordx2 v[0:1], off, off offset:1944
	s_waitcnt vmcnt(0)
	v_mov_b32_e32 v1, v7
	scratch_store_dwordx3 off, v[2:4], off offset:3572 ; 12-byte Folded Spill
	scratch_store_dwordx2 off, v[0:1], off offset:3764 ; 8-byte Folded Spill
	scratch_load_dwordx4 v[4:7], off, off offset:2060
	s_nop 0
	scratch_load_dwordx4 v[8:11], off, off offset:2076
	scratch_load_dwordx4 v[12:15], off, off offset:2044
	s_waitcnt vmcnt(1)
	v_fma_f32 v1, v16, v5, v8
	v_fmac_f32_e32 v1, v17, v6
	v_mov_b32_e32 v3, v1
	scratch_load_dwordx2 v[0:1], off, off offset:2024
	s_waitcnt vmcnt(0)
	v_mov_b32_e32 v1, v7
	v_fma_f32 v29, v16, v13, v4
	scratch_load_dwordx4 v[4:7], off, off offset:2028
	v_fmac_f32_e32 v29, v17, v14
	s_waitcnt vmcnt(0)
	v_mov_b32_e32 v7, v10
	scratch_store_dwordx2 off, v[0:1], off offset:3436 ; 8-byte Folded Spill
	scratch_load_dwordx2 v[0:1], off, off offset:2008
	s_waitcnt vmcnt(0)
	v_mov_b32_e32 v1, v15
	scratch_store_dwordx2 off, v[0:1], off offset:3456 ; 8-byte Folded Spill
	v_fma_f32 v0, v16, v5, v12
	scratch_load_dwordx3 v[12:14], off, off offset:2012
	s_waitcnt vmcnt(0)
	v_fma_f32 v2, v16, v13, v4
	scratch_store_dwordx2 off, v[2:3], s0   ; 8-byte Folded Spill
	scratch_store_dwordx3 off, v[12:14], off offset:3608 ; 12-byte Folded Spill
	scratch_load_dwordx3 v[2:4], off, off offset:2092
	s_movk_i32 s0, 0x1068
	s_waitcnt vmcnt(0)
	v_fma_f32 v1, v16, v9, v2
	v_pk_fma_f32 v[0:1], v[16:17], v[6:7], v[0:1] op_sel:[1,0,0]
	scratch_store_dwordx2 off, v[0:1], off offset:3772 ; 8-byte Folded Spill
	scratch_load_dwordx2 v[0:1], off, off offset:2040
	s_waitcnt vmcnt(0)
	v_mov_b32_e32 v1, v11
	scratch_store_dwordx3 off, v[2:4], off offset:3620 ; 12-byte Folded Spill
	scratch_store_dwordx2 off, v[0:1], off offset:3780 ; 8-byte Folded Spill
	scratch_load_dwordx4 v[4:7], off, off offset:2172
	s_nop 0
	scratch_load_dwordx4 v[8:11], off, off offset:2156
	scratch_load_dwordx2 v[0:1], off, off offset:2120
	s_waitcnt vmcnt(1)
	v_fma_f32 v123, v16, v9, v4
	v_fmac_f32_e32 v123, v17, v10
	s_waitcnt vmcnt(0)
	v_mov_b32_e32 v1, v11
	scratch_load_dwordx4 v[10:13], off, off offset:2140
	scratch_load_dwordx3 v[2:4], off, off offset:2108
	s_waitcnt vmcnt(1)
	v_fma_f32 v93, v16, v11, v8
	scratch_store_dwordx2 off, v[0:1], off offset:3464 ; 8-byte Folded Spill
	scratch_load_dwordx2 v[0:1], off, off offset:2104
	v_fmac_f32_e32 v93, v17, v12
	s_waitcnt vmcnt(0)
	v_mov_b32_e32 v1, v13
	scratch_load_dwordx4 v[12:15], off, off offset:2124
	s_waitcnt vmcnt(0)
	v_mov_b32_e32 v15, v6
	scratch_store_dwordx3 off, v[2:4], off offset:3648 ; 12-byte Folded Spill
	scratch_store_dwordx2 off, v[0:1], off offset:3472 ; 8-byte Folded Spill
	v_fma_f32 v122, v16, v3, v12
	scratch_load_dwordx3 v[2:4], off, off offset:2188
	v_fma_f32 v0, v16, v13, v10
	s_waitcnt vmcnt(0)
	v_fma_f32 v1, v16, v5, v2
	v_pk_fma_f32 v[0:1], v[16:17], v[14:15], v[0:1] op_sel:[1,0,0]
	scratch_store_dwordx2 off, v[0:1], off offset:3788 ; 8-byte Folded Spill
	scratch_load_dwordx2 v[0:1], off, off offset:2136
	s_waitcnt vmcnt(0)
	v_mov_b32_e32 v1, v7
	scratch_store_dwordx3 off, v[2:4], off offset:3660 ; 12-byte Folded Spill
	scratch_store_dwordx2 off, v[0:1], off offset:3796 ; 8-byte Folded Spill
	scratch_load_dwordx4 v[4:7], off, off offset:2252
	s_nop 0
	scratch_load_dwordx4 v[8:11], off, off offset:2268
	scratch_load_dwordx2 v[0:1], off, off offset:2216
	scratch_load_dwordx4 v[12:15], off, off offset:2236
	s_waitcnt vmcnt(1)
	v_mov_b32_e32 v1, v7
	v_fma_f32 v119, v16, v5, v8
	v_fmac_f32_e32 v119, v17, v6
	scratch_store_dwordx2 off, v[0:1], off offset:3496 ; 8-byte Folded Spill
	s_waitcnt vmcnt(1)
	v_fma_f32 v87, v16, v13, v4
	scratch_load_dwordx2 v[0:1], off, off offset:2200
	scratch_load_dwordx4 v[4:7], off, off offset:2220
	s_waitcnt vmcnt(1)
	v_mov_b32_e32 v1, v15
	v_fmac_f32_e32 v87, v17, v14
	s_waitcnt vmcnt(0)
	v_mov_b32_e32 v7, v10
	scratch_store_dwordx2 off, v[0:1], off offset:3504 ; 8-byte Folded Spill
	v_fma_f32 v0, v16, v5, v12
	scratch_load_dwordx3 v[12:14], off, off offset:2204
	s_waitcnt vmcnt(0)
	v_fma_f32 v118, v16, v13, v4
	scratch_load_dwordx3 v[2:4], off, off offset:2284
	s_waitcnt vmcnt(0)
	v_fma_f32 v1, v16, v9, v2
	v_pk_fma_f32 v[0:1], v[16:17], v[6:7], v[0:1] op_sel:[1,0,0]
	scratch_store_dwordx2 off, v[0:1], off offset:3804 ; 8-byte Folded Spill
	scratch_load_dwordx2 v[0:1], off, off offset:2232
	s_waitcnt vmcnt(0)
	v_mov_b32_e32 v1, v11
	scratch_store_dwordx3 off, v[12:14], off offset:3680 ; 12-byte Folded Spill
	scratch_store_dwordx3 off, v[2:4], off offset:3980 ; 12-byte Folded Spill
	scratch_store_dwordx2 off, v[0:1], off offset:3812 ; 8-byte Folded Spill
	scratch_load_dwordx4 v[4:7], off, off offset:2364
	s_nop 0
	scratch_load_dwordx4 v[8:11], off, off offset:2348
	scratch_load_dwordx2 v[0:1], off, off offset:2312
	s_waitcnt vmcnt(1)
	v_fma_f32 v73, v16, v9, v4
	v_fmac_f32_e32 v73, v17, v10
	s_waitcnt vmcnt(0)
	v_mov_b32_e32 v1, v11
	scratch_load_dwordx4 v[10:13], off, off offset:2332
	scratch_load_dwordx3 v[2:4], off, off offset:2300
	s_waitcnt vmcnt(1)
	v_fma_f32 v69, v16, v11, v8
	scratch_store_dwordx2 off, v[0:1], off offset:3544 ; 8-byte Folded Spill
	scratch_load_dwordx2 v[0:1], off, off offset:2296
	v_fmac_f32_e32 v69, v17, v12
	s_waitcnt vmcnt(0)
	v_mov_b32_e32 v1, v13
	scratch_load_dwordx4 v[12:15], off, off offset:2316
	s_waitcnt vmcnt(0)
	v_mov_b32_e32 v15, v6
	scratch_store_dwordx3 off, v[2:4], off offset:4064 ; 12-byte Folded Spill
	scratch_store_dwordx2 off, v[0:1], off offset:3552 ; 8-byte Folded Spill
	v_fma_f32 v72, v16, v3, v12
	scratch_load_dwordx3 v[2:4], off, off offset:2380
	v_fma_f32 v0, v16, v13, v10
	s_waitcnt vmcnt(0)
	v_fma_f32 v1, v16, v5, v2
	v_pk_fma_f32 v[0:1], v[16:17], v[14:15], v[0:1] op_sel:[1,0,0]
	scratch_store_dwordx2 off, v[0:1], off offset:3820 ; 8-byte Folded Spill
	scratch_load_dwordx2 v[0:1], off, off offset:2328
	s_waitcnt vmcnt(0)
	v_mov_b32_e32 v1, v7
	scratch_store_dwordx3 off, v[2:4], off offset:4076 ; 12-byte Folded Spill
	scratch_store_dwordx2 off, v[0:1], off offset:3828 ; 8-byte Folded Spill
	scratch_load_dwordx4 v[4:7], off, off offset:2444
	s_nop 0
	scratch_load_dwordx4 v[8:11], off, off offset:2460
	scratch_load_dwordx2 v[0:1], off, off offset:2408
	scratch_load_dwordx4 v[12:15], off, off offset:2428
	scratch_load_dwordx3 v[104:106], off, off offset:2396
	s_waitcnt vmcnt(2)
	v_mov_b32_e32 v1, v7
	v_fma_f32 v53, v16, v5, v8
	v_fmac_f32_e32 v53, v17, v6
	scratch_store_dwordx2 off, v[0:1], off offset:3592 ; 8-byte Folded Spill
	s_waitcnt vmcnt(2)
	v_fma_f32 v67, v16, v13, v4
	scratch_load_dwordx2 v[0:1], off, off offset:2392
	scratch_load_dwordx4 v[4:7], off, off offset:2412
	s_waitcnt vmcnt(1)
	v_mov_b32_e32 v1, v15
	s_waitcnt vmcnt(0)
	v_mov_b32_e32 v7, v10
	scratch_store_dwordx3 off, v[104:106], s0 ; 12-byte Folded Spill
	s_movk_i32 s0, 0x1008
	v_fmac_f32_e32 v67, v17, v14
	scratch_store_dwordx2 off, v[0:1], off offset:3600 ; 8-byte Folded Spill
	v_fma_f32 v52, v16, v105, v4
	scratch_load_dwordx3 v[2:4], off, off offset:2476
	v_fma_f32 v0, v16, v5, v12
	s_waitcnt vmcnt(0)
	v_fma_f32 v1, v16, v9, v2
	v_pk_fma_f32 v[0:1], v[16:17], v[6:7], v[0:1] op_sel:[1,0,0]
	scratch_store_dwordx2 off, v[0:1], off offset:3836 ; 8-byte Folded Spill
	scratch_load_dwordx2 v[0:1], off, off offset:2424
	s_waitcnt vmcnt(0)
	v_mov_b32_e32 v1, v11
	scratch_store_dwordx3 off, v[2:4], s0   ; 12-byte Folded Spill
	s_movk_i32 s0, 0x1040
	scratch_store_dwordx2 off, v[0:1], off offset:3844 ; 8-byte Folded Spill
	scratch_load_dwordx4 v[4:7], off, off offset:2556
	scratch_load_dwordx4 v[8:11], off, off offset:2540
	s_nop 0
	scratch_load_dwordx2 v[0:1], off, off offset:2504
	scratch_load_dwordx4 v[32:35], off, off offset:2508
	scratch_load_dwordx3 v[82:84], off, off offset:2492
	s_waitcnt vmcnt(1)
	v_mov_b32_e32 v35, v6
	v_fma_f32 v63, v16, v9, v4
	v_fmac_f32_e32 v63, v17, v10
	v_mov_b32_e32 v1, v11
	scratch_load_dwordx4 v[10:13], off, off offset:2524
	scratch_load_dwordx3 v[2:4], off, off offset:2572
	s_waitcnt vmcnt(2)
	v_fma_f32 v62, v16, v83, v32
	scratch_store_dwordx2 off, v[0:1], off offset:3632 ; 8-byte Folded Spill
	scratch_load_dwordx2 v[0:1], off, off offset:2488
	v_mov_b32_e32 v102, v82
	v_mov_b32_e32 v104, v84
	v_fmac_f32_e32 v62, v17, v104
	s_waitcnt vmcnt(0)
	v_mov_b32_e32 v1, v13
	scratch_store_dwordx3 off, v[2:4], s0   ; 12-byte Folded Spill
	v_fma_f32 v71, v16, v11, v8
	s_movk_i32 s0, 0x105c
	scratch_store_dwordx2 off, v[0:1], off offset:3640 ; 8-byte Folded Spill
	v_fma_f32 v0, v16, v33, v10
	v_fma_f32 v1, v16, v5, v2
	v_pk_fma_f32 v[0:1], v[16:17], v[34:35], v[0:1] op_sel:[1,0,0]
	scratch_store_dwordx2 off, v[0:1], off offset:3852 ; 8-byte Folded Spill
	scratch_load_dwordx2 v[0:1], off, off offset:2520
	s_waitcnt vmcnt(0)
	v_mov_b32_e32 v1, v7
	v_fmac_f32_e32 v71, v17, v12
	scratch_store_dwordx2 off, v[0:1], off offset:3860 ; 8-byte Folded Spill
	scratch_load_dwordx4 v[4:7], off, off offset:2636
	scratch_load_dwordx4 v[8:11], off, off offset:2652
	s_nop 0
	scratch_load_dwordx2 v[0:1], off, off offset:2600
	scratch_load_dwordx4 v[32:35], off, off offset:2620
	scratch_load_dwordx3 v[82:84], off, off offset:2588
	s_waitcnt vmcnt(2)
	v_mov_b32_e32 v1, v7
	v_fma_f32 v77, v16, v5, v8
	v_fmac_f32_e32 v77, v17, v6
	scratch_store_dwordx2 off, v[0:1], off offset:3672 ; 8-byte Folded Spill
	s_waitcnt vmcnt(2)
	v_fma_f32 v81, v16, v33, v4
	scratch_load_dwordx2 v[0:1], off, off offset:2584
	scratch_load_dwordx4 v[4:7], off, off offset:2604
	s_waitcnt vmcnt(1)
	v_mov_b32_e32 v1, v35
	s_waitcnt vmcnt(0)
	v_mov_b32_e32 v7, v10
	v_fmac_f32_e32 v81, v17, v34
	scratch_store_dwordx2 off, v[0:1], off offset:3992 ; 8-byte Folded Spill
	v_fma_f32 v76, v16, v83, v4
	scratch_load_dwordx3 v[2:4], off, off offset:2668
	v_fma_f32 v0, v16, v5, v32
	v_fmac_f32_e32 v76, v17, v84
	s_waitcnt vmcnt(0)
	v_fma_f32 v1, v16, v9, v2
	v_pk_fma_f32 v[0:1], v[16:17], v[6:7], v[0:1] op_sel:[1,0,0]
	scratch_store_dwordx2 off, v[0:1], off offset:3868 ; 8-byte Folded Spill
	scratch_load_dwordx2 v[0:1], off, off offset:2616
	s_waitcnt vmcnt(0)
	v_mov_b32_e32 v1, v11
	scratch_store_dwordx3 off, v[2:4], s0   ; 12-byte Folded Spill
	s_movk_i32 s0, 0x1000
	scratch_store_dwordx2 off, v[0:1], off offset:3876 ; 8-byte Folded Spill
	scratch_load_dwordx4 v[4:7], off, off offset:2748
	scratch_load_dwordx4 v[8:11], off, off offset:2732
	s_nop 0
	scratch_load_dwordx2 v[0:1], off, off offset:2696
	scratch_load_dwordx4 v[32:35], off, off offset:2716
	scratch_load_dwordx3 v[114:116], off, off offset:2764
	scratch_load_dwordx3 v[90:92], off, off offset:2684
	s_waitcnt vmcnt(4)
	v_fma_f32 v51, v16, v9, v4
	s_waitcnt vmcnt(3)
	v_mov_b32_e32 v1, v11
	v_fmac_f32_e32 v51, v17, v10
	scratch_store_dwordx2 off, v[0:1], off offset:4000 ; 8-byte Folded Spill
	s_waitcnt vmcnt(3)
	v_fma_f32 v85, v16, v33, v8
	scratch_load_dwordx2 v[0:1], off, off offset:2680
	scratch_load_dwordx4 v[8:11], off, off offset:2700
	s_waitcnt vmcnt(1)
	v_mov_b32_e32 v1, v35
	s_waitcnt vmcnt(0)
	v_mov_b32_e32 v11, v6
	v_fmac_f32_e32 v85, v17, v34
	scratch_store_dwordx2 off, v[0:1], off offset:4088 ; 8-byte Folded Spill
	v_fma_f32 v0, v16, v9, v32
	v_fma_f32 v1, v16, v5, v114
	v_pk_fma_f32 v[0:1], v[16:17], v[10:11], v[0:1] op_sel:[1,0,0]
	scratch_store_dwordx2 off, v[0:1], off offset:3884 ; 8-byte Folded Spill
	scratch_load_dwordx2 v[0:1], off, off offset:2712
	s_waitcnt vmcnt(0)
	v_mov_b32_e32 v1, v7
	v_fma_f32 v50, v16, v91, v8
	v_fmac_f32_e32 v50, v17, v92
	scratch_store_dwordx2 off, v[0:1], off offset:3892 ; 8-byte Folded Spill
	scratch_load_dwordx4 v[4:7], off, off offset:2828
	scratch_load_dwordx4 v[8:11], off, off offset:2844
	s_nop 0
	scratch_load_dwordx2 v[0:1], off, off offset:2792
	scratch_load_dwordx4 v[40:43], off, off offset:2812
	scratch_load_dwordx3 v[110:112], off, off offset:2860
	scratch_load_dwordx3 v[34:36], off, off offset:2780
	s_waitcnt vmcnt(3)
	v_mov_b32_e32 v1, v7
	v_fma_f32 v89, v16, v5, v8
	v_fmac_f32_e32 v89, v17, v6
	scratch_store_dwordx2 off, v[0:1], s0   ; 8-byte Folded Spill
	s_waitcnt vmcnt(3)
	v_fma_f32 v91, v16, v41, v4
	scratch_load_dwordx2 v[0:1], off, off offset:2776
	scratch_load_dwordx4 v[4:7], off, off offset:2796
	s_waitcnt vmcnt(1)
	v_mov_b32_e32 v1, v43
	s_movk_i32 s0, 0x1014
	s_waitcnt vmcnt(0)
	v_mov_b32_e32 v7, v10
	v_fmac_f32_e32 v91, v17, v42
	scratch_store_dwordx2 off, v[0:1], s0   ; 8-byte Folded Spill
	v_fma_f32 v0, v16, v5, v40
	v_fma_f32 v1, v16, v9, v110
	v_pk_fma_f32 v[0:1], v[16:17], v[6:7], v[0:1] op_sel:[1,0,0]
	scratch_store_dwordx2 off, v[0:1], off offset:3900 ; 8-byte Folded Spill
	scratch_load_dwordx2 v[0:1], off, off offset:2808
	s_waitcnt vmcnt(0)
	v_mov_b32_e32 v1, v11
	v_fma_f32 v88, v16, v35, v4
	s_movk_i32 s0, 0x101c
	v_fmac_f32_e32 v88, v17, v36
	scratch_store_dwordx2 off, v[0:1], off offset:3908 ; 8-byte Folded Spill
	scratch_load_dwordx4 v[4:7], off, off offset:2940
	scratch_load_dwordx4 v[40:43], off, off offset:2924
	s_nop 0
	scratch_load_dwordx2 v[0:1], off, off offset:2888
	scratch_load_dwordx3 v[58:60], off, off offset:2956
	scratch_load_dwordx2 v[8:9], off, off offset:2872
	scratch_load_dwordx3 v[54:56], off, off offset:2876
	s_waitcnt vmcnt(3)
	v_mov_b32_e32 v1, v43
	scratch_store_dwordx2 off, v[0:1], s0   ; 8-byte Folded Spill
	scratch_load_dwordx4 v[0:3], off, off offset:2908
	v_fma_f32 v49, v16, v41, v4
	v_fmac_f32_e32 v49, v17, v42
	s_movk_i32 s0, 0x104c
	s_waitcnt vmcnt(0)
	v_fma_f32 v35, v16, v1, v40
	scratch_load_dwordx4 v[40:43], off, off offset:2892
	v_fma_f32 v1, v16, v5, v58
	s_waitcnt vmcnt(0)
	v_mov_b32_e32 v43, v6
	v_mov_b32_e32 v9, v3
	scratch_store_dwordx2 off, v[8:9], s0   ; 8-byte Folded Spill
	s_movk_i32 s0, 0x1054
	v_fmac_f32_e32 v35, v17, v2
	v_fma_f32 v0, v16, v41, v0
	v_pk_fma_f32 v[0:1], v[16:17], v[42:43], v[0:1] op_sel:[1,0,0]
	scratch_store_dwordx2 off, v[0:1], off offset:3916 ; 8-byte Folded Spill
	scratch_load_dwordx2 v[0:1], off, off offset:2904
	s_waitcnt vmcnt(0)
	v_mov_b32_e32 v1, v7
	v_fma_f32 v48, v16, v55, v40
	v_fmac_f32_e32 v48, v17, v56
	scratch_store_dwordx2 off, v[0:1], off offset:3924 ; 8-byte Folded Spill
	scratch_load_dwordx4 v[4:7], off, off offset:3020
	scratch_load_dwordx4 v[8:11], off, off offset:3036
	s_nop 0
	scratch_load_dwordx2 v[0:1], off, off offset:2984
	scratch_load_dwordx3 v[94:96], off, off offset:3052
	scratch_load_dwordx3 v[98:100], off, off offset:2972
	s_waitcnt vmcnt(2)
	v_mov_b32_e32 v1, v7
	v_fma_f32 v41, v16, v5, v8
	scratch_store_dwordx2 off, v[0:1], s0   ; 8-byte Folded Spill
	scratch_load_dwordx4 v[0:3], off, off offset:3004
	s_movk_i32 s0, 0x1074
	v_fmac_f32_e32 v41, v17, v6
	s_waitcnt vmcnt(0)
	v_fma_f32 v47, v16, v1, v4
	scratch_load_dwordx2 v[4:5], off, off offset:2968
	s_waitcnt vmcnt(0)
	v_mov_b32_e32 v5, v3
	v_fmac_f32_e32 v47, v17, v2
	v_fma_f32 v1, v16, v9, v94
	scratch_store_dwordx2 off, v[4:5], s0   ; 8-byte Folded Spill
	scratch_load_dwordx4 v[2:5], off, off offset:2988
	s_waitcnt vmcnt(0)
	v_mov_b32_e32 v5, v10
	s_movk_i32 s0, 0x1030
	v_fma_f32 v0, v16, v3, v0
	v_pk_fma_f32 v[0:1], v[16:17], v[4:5], v[0:1] op_sel:[1,0,0]
	scratch_store_dwordx2 off, v[0:1], off offset:3932 ; 8-byte Folded Spill
	scratch_load_dwordx2 v[0:1], off, off offset:3000
	s_waitcnt vmcnt(0)
	v_mov_b32_e32 v1, v11
	v_fma_f32 v40, v16, v99, v2
	v_fmac_f32_e32 v40, v17, v100
	scratch_store_dwordx2 off, v[0:1], off offset:3940 ; 8-byte Folded Spill
	scratch_load_dwordx4 v[2:5], off, off offset:3132
	scratch_load_dwordx4 v[6:9], off, off offset:3116
	scratch_load_dwordx2 v[120:121], off, off offset:3080
	scratch_load_dwordx4 v[124:127], off, off offset:3084
	scratch_load_dwordx3 v[20:22], off, off offset:3148
	scratch_load_dwordx2 v[78:79], off, off offset:3064
	scratch_load_dwordx3 v[24:26], off, off offset:3068
	s_waitcnt vmcnt(3)
	v_mov_b32_e32 v127, v4
	v_fma_f32 v7, v16, v7, v2
	v_fmac_f32_e32 v7, v17, v8
	v_mov_b32_e32 v121, v9
	scratch_load_dwordx4 v[8:11], off, off offset:3100
	s_waitcnt vmcnt(3)
	v_fma_f32 v1, v16, v3, v20
	s_waitcnt vmcnt(1)
	v_fma_f32 v56, v16, v95, v24
	v_fmac_f32_e32 v56, v17, v96
	s_waitcnt vmcnt(0)
	v_fma_f32 v0, v16, v125, v8
	v_pk_fma_f32 v[0:1], v[16:17], v[126:127], v[0:1] op_sel:[1,0,0]
	scratch_store_dwordx2 off, v[0:1], off offset:3948 ; 8-byte Folded Spill
	scratch_load_dwordx2 v[0:1], off, off offset:3096
	s_waitcnt vmcnt(0)
	v_mov_b32_e32 v1, v5
	v_fma_f32 v57, v16, v9, v6
	v_fmac_f32_e32 v57, v17, v10
	v_mov_b32_e32 v79, v11
	v_fma_f32 v6, v16, v25, v124
	v_fmac_f32_e32 v6, v17, v26
	v_pk_fma_f32 v[6:7], v[18:19], v[120:121], v[6:7] op_sel_hi:[0,1,1]
	scratch_store_dwordx2 off, v[0:1], off offset:3956 ; 8-byte Folded Spill
	scratch_load_dwordx4 v[8:11], off, off offset:3212
	scratch_load_dwordx4 v[124:127], off, off offset:3228
	scratch_load_dwordx2 v[64:65], off, off offset:3176
	s_nop 0
	scratch_load_dwordx4 v[0:3], off, off offset:3196
	scratch_load_dwordx3 v[12:14], off, off offset:3244
	scratch_load_dwordx2 v[74:75], off, off offset:3160
	scratch_load_dwordx2 v[30:31], off, off offset:3488 ; 8-byte Folded Reload
	scratch_load_dwordx2 v[32:33], off, s0  ; 8-byte Folded Reload
	s_movk_i32 s0, 0x1024
	s_waitcnt vmcnt(5)
	v_mov_b32_e32 v65, v11
	v_fma_f32 v5, v16, v9, v124
	v_fmac_f32_e32 v5, v17, v10
	s_waitcnt vmcnt(4)
	v_fma_f32 v25, v16, v1, v8
	scratch_load_dwordx4 v[8:11], off, off offset:3180
	v_fmac_f32_e32 v25, v17, v2
	s_waitcnt vmcnt(4)
	v_fma_f32 v109, v16, v125, v12
	s_waitcnt vmcnt(0)
	v_mov_b32_e32 v11, v126
	v_fmac_f32_e32 v32, v17, v68
	v_mov_b32_e32 v125, v93
	v_fma_f32 v108, v16, v9, v0
	scratch_load_dwordx3 v[0:2], off, off offset:3164
	v_mov_b32_e32 v75, v3
	s_waitcnt vmcnt(0)
	v_fma_f32 v4, v16, v1, v8
	v_pk_fma_f32 v[8:9], v[16:17], v[10:11], v[108:109] op_sel:[1,0,0]
	scratch_store_dwordx2 off, v[8:9], off offset:3964 ; 8-byte Folded Spill
	scratch_load_dwordx2 v[8:9], off, off offset:3192
	v_fma_f32 v24, v16, v21, v0
	scratch_load_dwordx3 v[10:12], off, off offset:3424 ; 12-byte Folded Reload
	s_waitcnt vmcnt(1)
	v_mov_b32_e32 v9, v127
	v_fmac_f32_e32 v24, v17, v22
	v_fmac_f32_e32 v4, v17, v2
	v_mov_b32_e32 v127, v27
	v_pk_fma_f32 v[4:5], v[18:19], v[64:65], v[4:5] op_sel_hi:[0,1,1]
	scratch_store_dwordx2 off, v[8:9], off offset:3972 ; 8-byte Folded Spill
	v_mov_b32_e32 v9, v61
	s_waitcnt vmcnt(1)
	v_fma_f32 v8, v16, v11, v66
	v_fmac_f32_e32 v8, v17, v12
	scratch_load_dwordx3 v[10:12], off, off offset:3444 ; 12-byte Folded Reload
	v_fmac_f32_e32 v30, v17, v38
	scratch_store_dwordx2 off, v[8:9], off offset:3488 ; 8-byte Folded Spill
	v_mov_b32_e32 v9, v23
	s_waitcnt vmcnt(1)
	v_fma_f32 v38, v16, v11, v44
	v_fmac_f32_e32 v38, v17, v12
	scratch_store_dwordx2 off, v[38:39], off offset:3424 ; 8-byte Folded Spill
	scratch_load_dwordx2 v[38:39], off, off offset:3480 ; 8-byte Folded Reload
	s_nop 0
	scratch_load_dwordx3 v[10:12], off, off offset:3524 ; 12-byte Folded Reload
	scratch_load_dwordx3 v[42:44], off, s0  ; 12-byte Folded Reload
	s_movk_i32 s0, 0x1038
	s_waitcnt vmcnt(2)
	v_fmac_f32_e32 v38, v17, v46
	v_fma_f32 v46, v16, v59, v98
	s_waitcnt vmcnt(1)
	v_mov_b32_e32 v8, v10
	v_mov_b32_e32 v10, v12
	s_waitcnt vmcnt(0)
	v_mov_b32_e32 v11, v43
	v_mov_b32_e32 v12, v44
	scratch_load_dwordx2 v[44:45], off, off offset:3536 ; 8-byte Folded Reload
	v_fma_f32 v8, v16, v11, v8
	v_fmac_f32_e32 v8, v17, v12
	scratch_store_dwordx2 off, v[8:9], off offset:3444 ; 8-byte Folded Spill
	v_fmac_f32_e32 v46, v17, v60
	s_waitcnt vmcnt(1)
	v_fmac_f32_e32 v44, v17, v10
	scratch_load_dwordx3 v[10:12], off, off offset:3512 ; 12-byte Folded Reload
	scratch_load_dwordx3 v[108:110], off, off offset:3560 ; 12-byte Folded Reload
	scratch_load_dwordx2 v[42:43], off, off offset:3584 ; 8-byte Folded Reload
	s_waitcnt vmcnt(1)
	v_mov_b32_e32 v8, v108
	v_mov_b32_e32 v10, v110
	v_fma_f32 v126, v16, v11, v8
	s_waitcnt vmcnt(0)
	v_fmac_f32_e32 v42, v17, v10
	scratch_load_dwordx3 v[8:10], off, off offset:3572 ; 12-byte Folded Reload
	scratch_load_dwordx3 v[108:110], off, off offset:3608 ; 12-byte Folded Reload
	v_fmac_f32_e32 v126, v17, v12
	s_waitcnt vmcnt(0)
	v_mov_b32_e32 v66, v108
	v_fma_f32 v28, v16, v9, v66
	v_fmac_f32_e32 v28, v17, v10
	scratch_store_dwordx2 off, v[28:29], off offset:3480 ; 8-byte Folded Spill
	v_mov_b32_e32 v68, v110
	scratch_load_dwordx2 v[28:29], off, s0  ; 8-byte Folded Reload
	scratch_load_dwordx3 v[10:12], off, off offset:3620 ; 12-byte Folded Reload
	scratch_load_dwordx3 v[108:110], off, off offset:3648 ; 12-byte Folded Reload
	s_movk_i32 s0, 0x1068
	s_waitcnt vmcnt(2)
	v_fmac_f32_e32 v28, v17, v68
	s_waitcnt vmcnt(0)
	v_mov_b32_e32 v8, v108
	v_mov_b32_e32 v10, v110
	v_fma_f32 v124, v16, v11, v8
	v_fmac_f32_e32 v122, v17, v10
	scratch_load_dwordx3 v[8:10], off, off offset:3660 ; 12-byte Folded Reload
	scratch_load_dwordx3 v[108:110], off, off offset:3680 ; 12-byte Folded Reload
	v_fmac_f32_e32 v124, v17, v12
	s_waitcnt vmcnt(0)
	v_mov_b32_e32 v66, v108
	v_fma_f32 v86, v16, v9, v66
	v_mov_b32_e32 v68, v110
	v_fmac_f32_e32 v86, v17, v10
	scratch_load_dwordx3 v[8:10], off, off offset:3980 ; 12-byte Folded Reload
	scratch_load_dwordx3 v[108:110], off, off offset:4064 ; 12-byte Folded Reload
	v_fmac_f32_e32 v118, v17, v68
	scratch_load_dwordx4 v[0:3], off, off offset:3308
	scratch_load_dwordx3 v[20:22], off, off offset:3260
	scratch_load_dwordx2 v[36:37], off, off offset:3272
	s_waitcnt vmcnt(3)
	v_mov_b32_e32 v68, v108
	v_fma_f32 v68, v16, v9, v68
	v_fmac_f32_e32 v68, v17, v10
	scratch_load_dwordx3 v[8:10], off, off offset:4076 ; 12-byte Folded Reload
	scratch_load_dwordx3 v[106:108], off, s0 ; 12-byte Folded Reload
	s_movk_i32 s0, 0x1008
	v_mov_b32_e32 v70, v110
	v_fmac_f32_e32 v72, v17, v70
	s_waitcnt vmcnt(0)
	v_fma_f32 v66, v16, v9, v106
	v_fmac_f32_e32 v66, v17, v10
	scratch_load_dwordx3 v[8:10], off, s0   ; 12-byte Folded Reload
	s_movk_i32 s0, 0x1040
	v_fmac_f32_e32 v52, v17, v108
	scratch_load_dwordx4 v[104:107], off, off offset:3276
	s_waitcnt vmcnt(1)
	v_fma_f32 v70, v16, v9, v102
	v_fmac_f32_e32 v70, v17, v10
	scratch_load_dwordx3 v[8:10], off, s0   ; 12-byte Folded Reload
	s_movk_i32 s0, 0x105c
	s_waitcnt vmcnt(0)
	v_fma_f32 v80, v16, v9, v82
	v_fmac_f32_e32 v80, v17, v10
	scratch_load_dwordx3 v[8:10], off, s0   ; 12-byte Folded Reload
	s_movk_i32 s0, 0x1014
	s_waitcnt vmcnt(0)
	v_fma_f32 v84, v16, v9, v90
	v_fmac_f32_e32 v84, v17, v10
	scratch_load_dwordx4 v[8:11], off, off offset:3292
	v_fma_f32 v90, v16, v115, v34
	v_fma_f32 v34, v16, v111, v54
	v_mov_b32_e32 v26, v1
	v_mov_b32_e32 v27, v2
	v_fma_f32 v2, v16, v13, v20
	scratch_load_dwordx2 v[12:13], off, off offset:3256
	scratch_load_dword v1, off, off offset:3340
	scratch_load_dwordx4 v[108:111], off, off offset:3324
	v_fmac_f32_e32 v2, v17, v14
	v_pk_mul_f32 v[14:15], v[16:17], v[26:27]
	v_mov_b32_e32 v37, v3
	v_fmac_f32_e32 v90, v17, v116
	v_fmac_f32_e32 v34, v17, v112
	v_mov_b32_e32 v112, 0x3e800000
	s_waitcnt vmcnt(3)
	v_fmac_f32_e32 v0, v16, v9
	v_fmac_f32_e32 v0, v17, v10
	s_waitcnt vmcnt(2)
	v_mov_b32_e32 v13, v11
	v_mov_b32_e32 v3, v0
	v_fma_f32 v0, v16, v105, v8
	scratch_load_dwordx2 v[8:9], off, off offset:3288
	v_fma_f32 v10, v16, v21, v104
	s_waitcnt vmcnt(1)
	v_add_f32_e32 v11, v108, v14
	v_add_f32_e32 v11, v11, v15
	scratch_load_dwordx2 v[14:15], off, off offset:3352 ; 8-byte Folded Reload
	v_fmac_f32_e32 v10, v17, v22
	v_pk_fma_f32 v[2:3], v[18:19], v[12:13], v[2:3] op_sel_hi:[0,1,1]
	v_fmac_f32_e32 v1, v16, v109
	v_mov_b32_e32 v107, v110
	v_pk_fma_f32 v[0:1], v[16:17], v[106:107], v[0:1] op_sel:[1,0,0]
	s_waitcnt vmcnt(1)
	v_mov_b32_e32 v9, v111
	v_pk_fma_f32 v[0:1], v[18:19], v[8:9], v[0:1] op_sel_hi:[0,1,1]
	s_waitcnt vmcnt(0)
	v_pk_fma_f32 v[14:15], v[18:19], v[14:15], v[30:31] op_sel_hi:[0,1,1]
	scratch_store_dwordx2 off, v[14:15], off offset:3352 ; 8-byte Folded Spill
	scratch_load_dwordx2 v[14:15], off, off offset:3360 ; 8-byte Folded Reload
	s_nop 0
	scratch_load_dwordx2 v[20:21], off, off offset:3488 ; 8-byte Folded Reload
	s_waitcnt vmcnt(0)
	v_pk_fma_f32 v[14:15], v[18:19], v[14:15], v[20:21] op_sel_hi:[0,1,1]
	scratch_store_dwordx2 off, v[14:15], off offset:3360 ; 8-byte Folded Spill
	scratch_load_dwordx2 v[14:15], off, off offset:3368 ; 8-byte Folded Reload
	s_waitcnt vmcnt(0)
	v_pk_fma_f32 v[14:15], v[18:19], v[14:15], v[32:33] op_sel_hi:[0,1,1]
	scratch_store_dwordx2 off, v[14:15], off offset:3368 ; 8-byte Folded Spill
	scratch_load_dwordx2 v[14:15], off, off offset:3376 ; 8-byte Folded Reload
	s_nop 0
	scratch_load_dwordx2 v[20:21], off, off offset:3424 ; 8-byte Folded Reload
	s_waitcnt vmcnt(0)
	v_pk_fma_f32 v[14:15], v[18:19], v[14:15], v[20:21] op_sel_hi:[0,1,1]
	scratch_store_dwordx2 off, v[14:15], off offset:3376 ; 8-byte Folded Spill
	scratch_load_dwordx2 v[14:15], off, off offset:3384 ; 8-byte Folded Reload
	;; [unrolled: 10-line block ×3, first 2 shown]
	s_waitcnt vmcnt(0)
	v_pk_fma_f32 v[14:15], v[18:19], v[14:15], v[44:45] op_sel_hi:[0,1,1]
	scratch_store_dwordx2 off, v[14:15], off offset:3400 ; 8-byte Folded Spill
	scratch_load_dwordx2 v[14:15], off, off offset:3408 ; 8-byte Folded Reload
	s_waitcnt vmcnt(0)
	v_pk_fma_f32 v[14:15], v[18:19], v[14:15], v[126:127] op_sel_hi:[0,1,1]
	scratch_store_dwordx2 off, v[14:15], off offset:3408 ; 8-byte Folded Spill
	scratch_load_dwordx2 v[14:15], off, off offset:3416 ; 8-byte Folded Reload
	;; [unrolled: 4-line block ×3, first 2 shown]
	s_nop 0
	scratch_load_dwordx2 v[20:21], off, off offset:3480 ; 8-byte Folded Reload
	scratch_load_dwordx4 v[98:101], off, off offset:4024 ; 16-byte Folded Reload
	scratch_load_dwordx2 v[102:103], off, off offset:4040 ; 8-byte Folded Reload
	s_waitcnt vmcnt(2)
	v_pk_fma_f32 v[14:15], v[18:19], v[14:15], v[20:21] op_sel_hi:[0,1,1]
	scratch_store_dwordx2 off, v[14:15], off offset:3424 ; 8-byte Folded Spill
	scratch_load_dwordx2 v[14:15], off, off offset:3436 ; 8-byte Folded Reload
	s_waitcnt vmcnt(0)
	v_pk_fma_f32 v[14:15], v[18:19], v[14:15], v[28:29] op_sel_hi:[0,1,1]
	scratch_store_dwordx2 off, v[14:15], off offset:3436 ; 8-byte Folded Spill
	scratch_load_dwordx2 v[14:15], off, off offset:3472 ; 8-byte Folded Reload
	s_waitcnt vmcnt(0)
	v_pk_fma_f32 v[14:15], v[18:19], v[14:15], v[124:125] op_sel_hi:[0,1,1]
	scratch_store_dwordx2 off, v[14:15], off offset:3444 ; 8-byte Folded Spill
	scratch_load_dwordx2 v[14:15], off, off offset:3464 ; 8-byte Folded Reload
	s_waitcnt vmcnt(0)
	v_pk_fma_f32 v[14:15], v[18:19], v[14:15], v[122:123] op_sel_hi:[0,1,1]
	scratch_store_dwordx2 off, v[14:15], off offset:3456 ; 8-byte Folded Spill
	scratch_load_dwordx2 v[14:15], off, off offset:3504 ; 8-byte Folded Reload
	s_waitcnt vmcnt(0)
	v_pk_fma_f32 v[14:15], v[18:19], v[14:15], v[86:87] op_sel_hi:[0,1,1]
	scratch_store_dwordx2 off, v[14:15], off offset:3464 ; 8-byte Folded Spill
	scratch_load_dwordx2 v[14:15], off, off offset:3496 ; 8-byte Folded Reload
	s_waitcnt vmcnt(0)
	v_pk_fma_f32 v[14:15], v[18:19], v[14:15], v[118:119] op_sel_hi:[0,1,1]
	scratch_store_dwordx2 off, v[14:15], off offset:3472 ; 8-byte Folded Spill
	scratch_load_dwordx2 v[14:15], off, off offset:3552 ; 8-byte Folded Reload
	s_waitcnt vmcnt(0)
	v_pk_fma_f32 v[14:15], v[18:19], v[14:15], v[68:69] op_sel_hi:[0,1,1]
	scratch_store_dwordx2 off, v[14:15], off offset:3480 ; 8-byte Folded Spill
	scratch_load_dwordx2 v[14:15], off, off offset:3544 ; 8-byte Folded Reload
	s_waitcnt vmcnt(0)
	v_pk_fma_f32 v[14:15], v[18:19], v[14:15], v[72:73] op_sel_hi:[0,1,1]
	scratch_store_dwordx2 off, v[14:15], off offset:3488 ; 8-byte Folded Spill
	scratch_load_dwordx2 v[14:15], off, off offset:3600 ; 8-byte Folded Reload
	s_waitcnt vmcnt(0)
	v_pk_fma_f32 v[14:15], v[18:19], v[14:15], v[66:67] op_sel_hi:[0,1,1]
	scratch_store_dwordx2 off, v[14:15], off offset:3496 ; 8-byte Folded Spill
	scratch_load_dwordx2 v[14:15], off, off offset:3592 ; 8-byte Folded Reload
	s_waitcnt vmcnt(0)
	v_pk_fma_f32 v[14:15], v[18:19], v[14:15], v[52:53] op_sel_hi:[0,1,1]
	scratch_store_dwordx2 off, v[14:15], off offset:3504 ; 8-byte Folded Spill
	scratch_load_dwordx2 v[14:15], off, off offset:3640 ; 8-byte Folded Reload
	s_waitcnt vmcnt(0)
	v_pk_fma_f32 v[14:15], v[18:19], v[14:15], v[70:71] op_sel_hi:[0,1,1]
	scratch_store_dwordx2 off, v[14:15], off offset:3512 ; 8-byte Folded Spill
	scratch_load_dwordx2 v[14:15], off, off offset:3632 ; 8-byte Folded Reload
	s_nop 0
	scratch_store_dwordx2 off, v[6:7], off offset:3640 ; 8-byte Folded Spill
	v_pk_fma_f32 v[6:7], v[18:19], v[74:75], v[24:25] op_sel_hi:[0,1,1]
	scratch_store_dwordx2 off, v[6:7], off offset:3648 ; 8-byte Folded Spill
	scratch_store_dwordx2 off, v[4:5], off offset:3660 ; 8-byte Folded Spill
	scratch_load_dwordx4 v[4:7], off, off offset:1504
	s_waitcnt vmcnt(4)
	v_pk_fma_f32 v[14:15], v[18:19], v[14:15], v[62:63] op_sel_hi:[0,1,1]
	scratch_store_dwordx2 off, v[14:15], off offset:3524 ; 8-byte Folded Spill
	scratch_load_dwordx2 v[14:15], off, off offset:3992 ; 8-byte Folded Reload
	s_waitcnt vmcnt(2)
	v_fmac_f32_e32 v7, v16, v4
	v_mov_b32_e32 v101, v5
	v_mov_b32_e32 v103, v6
	;; [unrolled: 1-line block ×3, first 2 shown]
	s_waitcnt vmcnt(0)
	v_pk_fma_f32 v[14:15], v[18:19], v[14:15], v[80:81] op_sel_hi:[0,1,1]
	scratch_store_dwordx2 off, v[14:15], off offset:3536 ; 8-byte Folded Spill
	scratch_load_dwordx2 v[14:15], off, off offset:3672 ; 8-byte Folded Reload
	s_waitcnt vmcnt(0)
	v_pk_fma_f32 v[14:15], v[18:19], v[14:15], v[76:77] op_sel_hi:[0,1,1]
	scratch_store_dwordx2 off, v[14:15], off offset:3544 ; 8-byte Folded Spill
	scratch_load_dwordx2 v[14:15], off, off offset:4088 ; 8-byte Folded Reload
	;; [unrolled: 4-line block ×3, first 2 shown]
	s_waitcnt vmcnt(0)
	v_pk_fma_f32 v[14:15], v[18:19], v[14:15], v[50:51] op_sel_hi:[0,1,1]
	scratch_store_dwordx2 off, v[14:15], off offset:3560 ; 8-byte Folded Spill
	scratch_load_dwordx2 v[14:15], off, s0  ; 8-byte Folded Reload
	s_movk_i32 s0, 0x1000
	scratch_store_dwordx2 off, v[2:3], off offset:3672 ; 8-byte Folded Spill
	v_pk_fma_f32 v[2:3], v[18:19], v[36:37], v[10:11] op_sel_hi:[0,1,1]
	scratch_store_dwordx2 off, v[2:3], off offset:3680 ; 8-byte Folded Spill
	s_waitcnt vmcnt(2)
	v_pk_fma_f32 v[14:15], v[18:19], v[14:15], v[90:91] op_sel_hi:[0,1,1]
	scratch_store_dwordx2 off, v[14:15], off offset:3572 ; 8-byte Folded Spill
	scratch_load_dwordx2 v[14:15], off, s0  ; 8-byte Folded Reload
	s_movk_i32 s0, 0x104c
	s_waitcnt vmcnt(0)
	v_pk_fma_f32 v[14:15], v[18:19], v[14:15], v[88:89] op_sel_hi:[0,1,1]
	scratch_store_dwordx2 off, v[14:15], off offset:3584 ; 8-byte Folded Spill
	scratch_load_dwordx2 v[14:15], off, s0  ; 8-byte Folded Reload
	s_movk_i32 s0, 0x101c
	;; [unrolled: 5-line block ×5, first 2 shown]
	s_waitcnt vmcnt(0)
	v_pk_fma_f32 v[14:15], v[18:19], v[14:15], v[40:41] op_sel_hi:[0,1,1]
	scratch_store_dwordx2 off, v[14:15], off offset:3620 ; 8-byte Folded Spill
	v_pk_fma_f32 v[14:15], v[18:19], v[78:79], v[56:57] op_sel_hi:[0,1,1]
	scratch_store_dwordx2 off, v[14:15], off offset:3632 ; 8-byte Folded Spill
	scratch_load_dwordx2 v[2:3], off, off offset:3692 ; 8-byte Folded Reload
	scratch_load_dwordx2 v[6:7], off, off offset:3716 ; 8-byte Folded Reload
	s_waitcnt vmcnt(0)
	v_pk_fma_f32 v[2:3], v[18:19], v[2:3], v[6:7] op_sel_hi:[0,1,1]
	scratch_store_dwordx2 off, v[2:3], off offset:3692 ; 8-byte Folded Spill
	scratch_load_dwordx2 v[2:3], off, off offset:3700 ; 8-byte Folded Reload
	s_nop 0
	scratch_load_dwordx2 v[6:7], off, off offset:3724 ; 8-byte Folded Reload
	s_waitcnt vmcnt(0)
	v_pk_fma_f32 v[2:3], v[18:19], v[2:3], v[6:7] op_sel_hi:[0,1,1]
	scratch_store_dwordx2 off, v[2:3], off offset:3700 ; 8-byte Folded Spill
	scratch_load_dwordx2 v[2:3], off, off offset:3708 ; 8-byte Folded Reload
	s_nop 0
	;; [unrolled: 6-line block ×17, first 2 shown]
	scratch_load_dwordx2 v[6:7], off, off offset:3972 ; 8-byte Folded Reload
	s_waitcnt vmcnt(0)
	v_pk_fma_f32 v[2:3], v[18:19], v[6:7], v[2:3] op_sel_hi:[0,1,1]
	scratch_store_dwordx2 off, v[2:3], off offset:3828 ; 8-byte Folded Spill
	scratch_load_dwordx3 v[2:4], off, s0    ; 12-byte Folded Reload
	s_movk_i32 s0, 0x1088
	scratch_load_dwordx4 v[8:11], off, s0   ; 16-byte Folded Reload
	s_movk_i32 s0, 0x1098
	scratch_load_dwordx4 v[24:27], off, s0  ; 16-byte Folded Reload
	s_movk_i32 s0, 0x10b0
	scratch_load_dwordx4 v[12:15], off, s0  ; 16-byte Folded Reload
	;; [unrolled: 2-line block ×3, first 2 shown]
	s_movk_i32 s0, 0x10d8
	scratch_store_dwordx2 off, v[0:1], off offset:3836 ; 8-byte Folded Spill
	v_ashrrev_i32_e32 v7, 31, v19
	v_mov_b32_e32 v6, v19
	s_waitcnt vmcnt(4)
	v_fma_f32 v0, v16, v8, v2
	v_fmac_f32_e32 v0, v17, v9
	s_waitcnt vmcnt(3)
	v_fma_f32 v2, v16, v3, v24
	v_fmac_f32_e32 v2, v17, v4
	;; [unrolled: 3-line block ×3, first 2 shown]
	v_pk_fma_f32 v[0:1], v[18:19], v[10:11], v[0:1] op_sel_hi:[0,1,1]
	scratch_load_dwordx4 v[8:11], off, s0   ; 16-byte Folded Reload
	s_movk_i32 s0, 0x10a8
	scratch_store_dwordx2 off, v[0:1], off offset:3844 ; 8-byte Folded Spill
	scratch_load_dwordx2 v[0:1], off, s0    ; 8-byte Folded Reload
	s_movk_i32 s0, 0x10e8
	s_waitcnt vmcnt(2)
	v_fma_f32 v3, v16, v21, v8
	v_fmac_f32_e32 v3, v17, v22
	v_fma_f32 v8, v16, v25, v12
	s_waitcnt vmcnt(0)
	v_pk_fma_f32 v[0:1], v[18:19], v[0:1], v[2:3] op_sel_hi:[0,1,1]
	scratch_store_dwordx2 off, v[0:1], off offset:3852 ; 8-byte Folded Spill
	scratch_load_dwordx3 v[0:2], off, s0    ; 12-byte Folded Reload
	s_movk_i32 s0, 0x10f4
	scratch_load_dwordx3 v[10:12], off, s0  ; 12-byte Folded Reload
	s_movk_i32 s0, 0x1108
	scratch_load_dwordx4 v[42:45], off, s0  ; 16-byte Folded Reload
	s_movk_i32 s0, 0x1120
	s_waitcnt vmcnt(2)
	v_fma_f32 v9, v16, v9, v0
	v_pk_fma_f32 v[8:9], v[16:17], v[26:27], v[8:9] op_sel:[1,0,0]
	s_waitcnt vmcnt(1)
	v_fma_f32 v0, v16, v1, v10
	v_fmac_f32_e32 v0, v17, v2
	s_waitcnt vmcnt(0)
	v_fma_f32 v2, v16, v11, v42
	v_fmac_f32_e32 v2, v17, v12
	scratch_load_dwordx4 v[10:13], off, s0  ; 16-byte Folded Reload
	s_movk_i32 s0, 0x1138
	scratch_load_dwordx4 v[20:23], off, s0  ; 16-byte Folded Reload
	s_movk_i32 s0, 0x1100
	s_waitcnt vmcnt(1)
	v_mov_b32_e32 v14, v12
	v_mov_b32_e32 v13, v11
	;; [unrolled: 1-line block ×3, first 2 shown]
	scratch_load_dwordx2 v[10:11], off, s0  ; 8-byte Folded Reload
	s_movk_i32 s0, 0x1148
	s_waitcnt vmcnt(1)
	v_fma_f32 v1, v16, v13, v20
	scratch_load_dwordx4 v[28:31], off, s0  ; 16-byte Folded Reload
	v_fmac_f32_e32 v1, v17, v14
	s_movk_i32 s0, 0x1118
	s_waitcnt vmcnt(1)
	v_pk_fma_f32 v[0:1], v[18:19], v[10:11], v[0:1] op_sel_hi:[0,1,1]
	scratch_store_dwordx2 off, v[0:1], off offset:3860 ; 8-byte Folded Spill
	scratch_load_dwordx2 v[0:1], off, s0    ; 8-byte Folded Reload
	s_waitcnt vmcnt(2)
	v_mov_b64_e32 v[10:11], v[28:29]
	v_fma_f32 v3, v16, v21, v10
	v_fmac_f32_e32 v3, v17, v22
	s_movk_i32 s0, 0x1158
	v_fma_f32 v10, v16, v43, v12
	s_waitcnt vmcnt(0)
	v_pk_fma_f32 v[0:1], v[18:19], v[0:1], v[2:3] op_sel_hi:[0,1,1]
	scratch_store_dwordx2 off, v[0:1], off offset:3868 ; 8-byte Folded Spill
	scratch_load_dwordx3 v[0:2], off, s0    ; 12-byte Folded Reload
	s_movk_i32 s0, 0x1164
	scratch_load_dwordx3 v[12:14], off, s0  ; 12-byte Folded Reload
	s_movk_i32 s0, 0x1178
	scratch_load_dwordx4 v[50:53], off, s0  ; 16-byte Folded Reload
	s_movk_i32 s0, 0x1190
	s_waitcnt vmcnt(2)
	v_fma_f32 v11, v16, v11, v0
	s_waitcnt vmcnt(1)
	v_fma_f32 v0, v16, v1, v12
	v_fmac_f32_e32 v0, v17, v2
	s_waitcnt vmcnt(0)
	v_fma_f32 v2, v16, v13, v50
	v_fmac_f32_e32 v2, v17, v14
	scratch_load_dwordx4 v[12:15], off, s0  ; 16-byte Folded Reload
	s_movk_i32 s0, 0x11a8
	s_waitcnt vmcnt(0)
	v_mov_b32_e32 v22, v14
	v_mov_b32_e32 v21, v13
	;; [unrolled: 1-line block ×3, first 2 shown]
	scratch_load_dwordx4 v[12:15], off, s0  ; 16-byte Folded Reload
	s_movk_i32 s0, 0x1170
	s_waitcnt vmcnt(0)
	v_mov_b32_e32 v30, v14
	v_mov_b32_e32 v29, v13
	;; [unrolled: 1-line block ×3, first 2 shown]
	scratch_load_dwordx2 v[12:13], off, s0  ; 8-byte Folded Reload
	v_fma_f32 v1, v16, v21, v28
	v_fmac_f32_e32 v1, v17, v22
	s_movk_i32 s0, 0x11b8
	s_waitcnt vmcnt(0)
	v_pk_fma_f32 v[0:1], v[18:19], v[12:13], v[0:1] op_sel_hi:[0,1,1]
	scratch_load_dwordx4 v[12:15], off, s0  ; 16-byte Folded Reload
	s_movk_i32 s0, 0x1188
	scratch_store_dwordx2 off, v[0:1], off offset:3876 ; 8-byte Folded Spill
	scratch_load_dwordx2 v[0:1], off, s0    ; 8-byte Folded Reload
	s_movk_i32 s0, 0x11c8
	s_waitcnt vmcnt(2)
	v_fma_f32 v3, v16, v29, v12
	v_fmac_f32_e32 v3, v17, v30
	s_waitcnt vmcnt(0)
	v_pk_fma_f32 v[0:1], v[18:19], v[0:1], v[2:3] op_sel_hi:[0,1,1]
	scratch_load_dwordx3 v[2:4], off, s0    ; 12-byte Folded Reload
	s_movk_i32 s0, 0x11d4
	scratch_store_dwordx2 off, v[0:1], off offset:3884 ; 8-byte Folded Spill
	v_fma_f32 v0, v16, v51, v20
	s_waitcnt vmcnt(1)
	v_fma_f32 v1, v16, v13, v2
	scratch_load_dwordx3 v[12:14], off, s0  ; 12-byte Folded Reload
	s_movk_i32 s0, 0x11e8
	scratch_load_dwordx4 v[54:57], off, s0  ; 16-byte Folded Reload
	s_movk_i32 s0, 0x1200
	scratch_load_dwordx4 v[20:23], off, s0  ; 16-byte Folded Reload
	;; [unrolled: 2-line block ×3, first 2 shown]
	s_movk_i32 s0, 0x11e0
	v_pk_fma_f32 v[0:1], v[16:17], v[52:53], v[0:1] op_sel:[1,0,0]
	s_waitcnt vmcnt(3)
	v_fma_f32 v2, v16, v3, v12
	v_fmac_f32_e32 v2, v17, v4
	s_waitcnt vmcnt(2)
	v_fma_f32 v12, v16, v13, v54
	v_fmac_f32_e32 v12, v17, v14
	scratch_load_dwordx2 v[14:15], off, s0  ; 8-byte Folded Reload
	s_movk_i32 s0, 0x1228
	s_waitcnt vmcnt(1)
	v_fma_f32 v3, v16, v21, v28
	v_fmac_f32_e32 v3, v17, v22
	scratch_load_dwordx4 v[22:25], off, s0  ; 16-byte Folded Reload
	s_movk_i32 s0, 0x11f8
	s_waitcnt vmcnt(1)
	v_pk_fma_f32 v[2:3], v[18:19], v[14:15], v[2:3] op_sel_hi:[0,1,1]
	scratch_store_dwordx2 off, v[2:3], off offset:3892 ; 8-byte Folded Spill
	scratch_load_dwordx2 v[2:3], off, s0    ; 8-byte Folded Reload
	s_movk_i32 s0, 0x1238
	s_waitcnt vmcnt(2)
	v_mov_b64_e32 v[14:15], v[22:23]
	v_fma_f32 v13, v16, v29, v14
	v_fmac_f32_e32 v13, v17, v30
	s_waitcnt vmcnt(0)
	v_pk_fma_f32 v[2:3], v[18:19], v[2:3], v[12:13] op_sel_hi:[0,1,1]
	scratch_load_dwordx3 v[12:14], off, s0  ; 12-byte Folded Reload
	s_movk_i32 s0, 0x1244
	scratch_store_dwordx2 off, v[2:3], off offset:3900 ; 8-byte Folded Spill
	v_fma_f32 v2, v16, v55, v20
	scratch_load_dwordx3 v[20:22], off, s0  ; 12-byte Folded Reload
	s_movk_i32 s0, 0x1258
	scratch_load_dwordx4 v[62:65], off, s0  ; 16-byte Folded Reload
	s_movk_i32 s0, 0x1270
	s_waitcnt vmcnt(3)
	v_fma_f32 v3, v16, v15, v12
	s_waitcnt vmcnt(1)
	v_fma_f32 v12, v16, v13, v20
	v_fmac_f32_e32 v12, v17, v14
	s_waitcnt vmcnt(0)
	v_fma_f32 v14, v16, v21, v62
	v_fmac_f32_e32 v14, v17, v22
	scratch_load_dwordx4 v[20:23], off, s0  ; 16-byte Folded Reload
	s_movk_i32 s0, 0x1288
	scratch_load_dwordx4 v[28:31], off, s0  ; 16-byte Folded Reload
	s_movk_i32 s0, 0x1250
	s_waitcnt vmcnt(1)
	v_mov_b32_e32 v24, v22
	v_mov_b32_e32 v23, v21
	;; [unrolled: 1-line block ×3, first 2 shown]
	scratch_load_dwordx2 v[20:21], off, s0  ; 8-byte Folded Reload
	s_movk_i32 s0, 0x1298
	s_waitcnt vmcnt(1)
	v_fma_f32 v13, v16, v23, v28
	scratch_load_dwordx4 v[32:35], off, s0  ; 16-byte Folded Reload
	v_fmac_f32_e32 v13, v17, v24
	s_movk_i32 s0, 0x1268
	s_waitcnt vmcnt(1)
	v_pk_fma_f32 v[12:13], v[18:19], v[20:21], v[12:13] op_sel_hi:[0,1,1]
	scratch_store_dwordx2 off, v[12:13], off offset:3908 ; 8-byte Folded Spill
	scratch_load_dwordx2 v[12:13], off, s0  ; 8-byte Folded Reload
	s_waitcnt vmcnt(2)
	v_mov_b64_e32 v[20:21], v[32:33]
	v_fma_f32 v15, v16, v29, v20
	v_fmac_f32_e32 v15, v17, v30
	s_movk_i32 s0, 0x12a8
	v_fma_f32 v20, v16, v63, v22
	s_waitcnt vmcnt(0)
	v_pk_fma_f32 v[12:13], v[18:19], v[12:13], v[14:15] op_sel_hi:[0,1,1]
	scratch_store_dwordx2 off, v[12:13], off offset:3916 ; 8-byte Folded Spill
	scratch_load_dwordx3 v[12:14], off, s0  ; 12-byte Folded Reload
	s_movk_i32 s0, 0x12b4
	scratch_load_dwordx3 v[22:24], off, s0  ; 12-byte Folded Reload
	s_movk_i32 s0, 0x12c8
	scratch_load_dwordx4 v[66:69], off, s0  ; 16-byte Folded Reload
	s_movk_i32 s0, 0x12e0
	s_waitcnt vmcnt(2)
	v_fma_f32 v21, v16, v21, v12
	s_waitcnt vmcnt(1)
	v_fma_f32 v12, v16, v13, v22
	v_fmac_f32_e32 v12, v17, v14
	s_waitcnt vmcnt(0)
	v_fma_f32 v14, v16, v23, v66
	v_fmac_f32_e32 v14, v17, v24
	scratch_load_dwordx4 v[22:25], off, s0  ; 16-byte Folded Reload
	s_movk_i32 s0, 0x12f8
	s_waitcnt vmcnt(0)
	v_mov_b32_e32 v30, v24
	v_mov_b32_e32 v29, v23
	;; [unrolled: 1-line block ×3, first 2 shown]
	scratch_load_dwordx4 v[22:25], off, s0  ; 16-byte Folded Reload
	s_movk_i32 s0, 0x12c0
	s_waitcnt vmcnt(0)
	v_mov_b32_e32 v34, v24
	v_mov_b32_e32 v33, v23
	;; [unrolled: 1-line block ×3, first 2 shown]
	scratch_load_dwordx2 v[22:23], off, s0  ; 8-byte Folded Reload
	v_fma_f32 v13, v16, v29, v32
	v_fmac_f32_e32 v13, v17, v30
	s_movk_i32 s0, 0x1308
	s_waitcnt vmcnt(0)
	v_pk_fma_f32 v[12:13], v[18:19], v[22:23], v[12:13] op_sel_hi:[0,1,1]
	scratch_load_dwordx4 v[22:25], off, s0  ; 16-byte Folded Reload
	s_movk_i32 s0, 0x12d8
	scratch_store_dwordx2 off, v[12:13], off offset:3924 ; 8-byte Folded Spill
	scratch_load_dwordx2 v[12:13], off, s0  ; 8-byte Folded Reload
	s_movk_i32 s0, 0x1318
	s_waitcnt vmcnt(2)
	v_fma_f32 v15, v16, v33, v22
	v_fmac_f32_e32 v15, v17, v34
	v_fma_f32 v22, v16, v67, v28
	s_waitcnt vmcnt(0)
	v_pk_fma_f32 v[12:13], v[18:19], v[12:13], v[14:15] op_sel_hi:[0,1,1]
	scratch_store_dwordx2 off, v[12:13], off offset:3932 ; 8-byte Folded Spill
	scratch_load_dwordx3 v[12:14], off, s0  ; 12-byte Folded Reload
	s_movk_i32 s0, 0x1324
	scratch_load_dwordx3 v[28:30], off, s0  ; 12-byte Folded Reload
	s_movk_i32 s0, 0x1338
	scratch_load_dwordx4 v[70:73], off, s0  ; 16-byte Folded Reload
	s_movk_i32 s0, 0x1350
	s_waitcnt vmcnt(2)
	v_fma_f32 v23, v16, v23, v12
	s_waitcnt vmcnt(1)
	v_fma_f32 v12, v16, v13, v28
	v_fmac_f32_e32 v12, v17, v14
	s_waitcnt vmcnt(0)
	v_fma_f32 v14, v16, v29, v70
	v_fmac_f32_e32 v14, v17, v30
	scratch_load_dwordx4 v[28:31], off, s0  ; 16-byte Folded Reload
	s_movk_i32 s0, 0x1368
	scratch_load_dwordx4 v[32:35], off, s0  ; 16-byte Folded Reload
	s_movk_i32 s0, 0x1330
	scratch_load_dwordx2 v[24:25], off, s0  ; 8-byte Folded Reload
	s_movk_i32 s0, 0x1378
	scratch_load_dwordx4 v[40:43], off, s0  ; 16-byte Folded Reload
	s_movk_i32 s0, 0x1348
	s_waitcnt vmcnt(3)
	v_fma_f32 v28, v16, v71, v28
	s_waitcnt vmcnt(2)
	v_fma_f32 v13, v16, v29, v32
	v_fmac_f32_e32 v13, v17, v30
	s_waitcnt vmcnt(1)
	v_pk_fma_f32 v[12:13], v[18:19], v[24:25], v[12:13] op_sel_hi:[0,1,1]
	scratch_store_dwordx2 off, v[12:13], off offset:3940 ; 8-byte Folded Spill
	scratch_load_dwordx2 v[12:13], off, s0  ; 8-byte Folded Reload
	s_waitcnt vmcnt(2)
	v_mov_b64_e32 v[24:25], v[40:41]
	v_fma_f32 v15, v16, v33, v24
	v_fmac_f32_e32 v15, v17, v34
	s_movk_i32 s0, 0x1388
	s_waitcnt vmcnt(0)
	v_pk_fma_f32 v[12:13], v[18:19], v[12:13], v[14:15] op_sel_hi:[0,1,1]
	scratch_store_dwordx2 off, v[12:13], off offset:3948 ; 8-byte Folded Spill
	scratch_load_dwordx3 v[12:14], off, s0  ; 12-byte Folded Reload
	s_movk_i32 s0, 0x1394
	scratch_load_dwordx3 v[30:32], off, s0  ; 12-byte Folded Reload
	s_movk_i32 s0, 0x13a8
	scratch_load_dwordx4 v[74:77], off, s0  ; 16-byte Folded Reload
	s_movk_i32 s0, 0x13c0
	s_waitcnt vmcnt(2)
	v_fma_f32 v29, v16, v25, v12
	s_waitcnt vmcnt(1)
	v_fma_f32 v12, v16, v13, v30
	v_fmac_f32_e32 v12, v17, v14
	s_waitcnt vmcnt(0)
	v_fma_f32 v14, v16, v31, v74
	v_fmac_f32_e32 v14, v17, v32
	scratch_load_dwordx4 v[30:33], off, s0  ; 16-byte Folded Reload
	s_movk_i32 s0, 0x13d8
	scratch_load_dwordx4 v[34:37], off, s0  ; 16-byte Folded Reload
	s_movk_i32 s0, 0x13a0
	scratch_load_dwordx2 v[24:25], off, s0  ; 8-byte Folded Reload
	s_movk_i32 s0, 0x13e8
	scratch_load_dwordx4 v[40:43], off, s0  ; 16-byte Folded Reload
	s_movk_i32 s0, 0x13b8
	s_waitcnt vmcnt(3)
	v_fma_f32 v30, v16, v75, v30
	s_waitcnt vmcnt(2)
	v_fma_f32 v13, v16, v31, v34
	v_fmac_f32_e32 v13, v17, v32
	s_waitcnt vmcnt(1)
	v_pk_fma_f32 v[12:13], v[18:19], v[24:25], v[12:13] op_sel_hi:[0,1,1]
	scratch_store_dwordx2 off, v[12:13], off offset:3956 ; 8-byte Folded Spill
	scratch_load_dwordx2 v[12:13], off, s0  ; 8-byte Folded Reload
	s_waitcnt vmcnt(2)
	v_mov_b64_e32 v[24:25], v[40:41]
	v_fma_f32 v15, v16, v35, v24
	v_fmac_f32_e32 v15, v17, v36
	s_movk_i32 s0, 0x13f8
	s_waitcnt vmcnt(0)
	v_pk_fma_f32 v[12:13], v[18:19], v[12:13], v[14:15] op_sel_hi:[0,1,1]
	scratch_store_dwordx2 off, v[12:13], off offset:3964 ; 8-byte Folded Spill
	scratch_load_dwordx3 v[12:14], off, s0  ; 12-byte Folded Reload
	s_movk_i32 s0, 0x1404
	scratch_load_dwordx3 v[32:34], off, s0  ; 12-byte Folded Reload
	s_movk_i32 s0, 0x1418
	scratch_load_dwordx4 v[78:81], off, s0  ; 16-byte Folded Reload
	s_movk_i32 s0, 0x1430
	s_waitcnt vmcnt(2)
	v_fma_f32 v31, v16, v25, v12
	s_waitcnt vmcnt(1)
	v_fma_f32 v12, v16, v13, v32
	v_fmac_f32_e32 v12, v17, v14
	s_waitcnt vmcnt(0)
	v_fma_f32 v14, v16, v33, v78
	v_fmac_f32_e32 v14, v17, v34
	scratch_load_dwordx4 v[32:35], off, s0  ; 16-byte Folded Reload
	s_movk_i32 s0, 0x1448
	scratch_load_dwordx4 v[40:43], off, s0  ; 16-byte Folded Reload
	s_movk_i32 s0, 0x1410
	scratch_load_dwordx2 v[24:25], off, s0  ; 8-byte Folded Reload
	s_movk_i32 s0, 0x1458
	s_waitcnt vmcnt(2)
	v_fma_f32 v32, v16, v79, v32
	s_waitcnt vmcnt(1)
	v_mov_b32_e32 v36, v40
	v_mov_b32_e32 v37, v41
	v_mov_b32_e32 v38, v42
	v_fma_f32 v13, v16, v33, v36
	scratch_load_dwordx4 v[40:43], off, s0  ; 16-byte Folded Reload
	v_fmac_f32_e32 v13, v17, v34
	s_waitcnt vmcnt(1)
	v_pk_fma_f32 v[12:13], v[18:19], v[24:25], v[12:13] op_sel_hi:[0,1,1]
	s_movk_i32 s0, 0x1428
	scratch_store_dwordx2 off, v[12:13], off offset:3972 ; 8-byte Folded Spill
	scratch_load_dwordx2 v[12:13], off, s0  ; 8-byte Folded Reload
	s_movk_i32 s0, 0x1468
	s_waitcnt vmcnt(2)
	v_mov_b64_e32 v[24:25], v[40:41]
	v_fma_f32 v15, v16, v37, v24
	v_fmac_f32_e32 v15, v17, v38
	s_waitcnt vmcnt(0)
	v_pk_fma_f32 v[12:13], v[18:19], v[12:13], v[14:15] op_sel_hi:[0,1,1]
	scratch_store_dwordx2 off, v[12:13], off offset:3980 ; 8-byte Folded Spill
	scratch_load_dwordx3 v[12:14], off, s0  ; 12-byte Folded Reload
	s_movk_i32 s0, 0x1474
	scratch_load_dwordx3 v[34:36], off, s0  ; 12-byte Folded Reload
	s_movk_i32 s0, 0x1488
	scratch_load_dwordx4 v[82:85], off, s0  ; 16-byte Folded Reload
	s_movk_i32 s0, 0x14a0
	s_waitcnt vmcnt(2)
	v_fma_f32 v33, v16, v25, v12
	s_waitcnt vmcnt(1)
	v_fma_f32 v12, v16, v13, v34
	v_fmac_f32_e32 v12, v17, v14
	s_waitcnt vmcnt(0)
	v_fma_f32 v14, v16, v35, v82
	v_fmac_f32_e32 v14, v17, v36
	scratch_load_dwordx4 v[34:37], off, s0  ; 16-byte Folded Reload
	s_movk_i32 s0, 0x14b8
	scratch_load_dwordx4 v[40:43], off, s0  ; 16-byte Folded Reload
	s_movk_i32 s0, 0x1480
	scratch_load_dwordx2 v[24:25], off, s0  ; 8-byte Folded Reload
	s_movk_i32 s0, 0x14c8
	scratch_load_dwordx4 v[58:61], off, s0  ; 16-byte Folded Reload
	s_movk_i32 s0, 0x1498
	s_waitcnt vmcnt(3)
	v_fma_f32 v34, v16, v83, v34
	s_waitcnt vmcnt(2)
	v_fma_f32 v13, v16, v35, v40
	v_fmac_f32_e32 v13, v17, v36
	s_waitcnt vmcnt(1)
	v_pk_fma_f32 v[12:13], v[18:19], v[24:25], v[12:13] op_sel_hi:[0,1,1]
	scratch_store_dwordx2 off, v[12:13], off offset:3992 ; 8-byte Folded Spill
	scratch_load_dwordx2 v[12:13], off, s0  ; 8-byte Folded Reload
	s_waitcnt vmcnt(2)
	v_mov_b64_e32 v[24:25], v[58:59]
	v_fma_f32 v15, v16, v41, v24
	v_fmac_f32_e32 v15, v17, v42
	s_movk_i32 s0, 0x14d8
	s_waitcnt vmcnt(0)
	v_pk_fma_f32 v[12:13], v[18:19], v[12:13], v[14:15] op_sel_hi:[0,1,1]
	scratch_store_dwordx2 off, v[12:13], off offset:4000 ; 8-byte Folded Spill
	scratch_load_dwordx3 v[12:14], off, s0  ; 12-byte Folded Reload
	s_movk_i32 s0, 0x14e4
	scratch_load_dwordx3 v[36:38], off, s0  ; 12-byte Folded Reload
	s_movk_i32 s0, 0x14f8
	scratch_load_dwordx4 v[86:89], off, s0  ; 16-byte Folded Reload
	s_movk_i32 s0, 0x1510
	scratch_load_dwordx4 v[40:43], off, s0  ; 16-byte Folded Reload
	s_movk_i32 s0, 0x1528
	s_waitcnt vmcnt(3)
	v_fma_f32 v35, v16, v25, v12
	s_waitcnt vmcnt(2)
	v_fma_f32 v12, v16, v13, v36
	v_fmac_f32_e32 v12, v17, v14
	s_waitcnt vmcnt(1)
	v_fma_f32 v14, v16, v37, v86
	v_fmac_f32_e32 v14, v17, v38
	s_waitcnt vmcnt(0)
	v_mov_b32_e32 v36, v40
	v_mov_b32_e32 v37, v41
	v_mov_b32_e32 v38, v42
	scratch_load_dwordx4 v[40:43], off, s0  ; 16-byte Folded Reload
	s_movk_i32 s0, 0x14f0
	scratch_load_dwordx2 v[24:25], off, s0  ; 8-byte Folded Reload
	s_movk_i32 s0, 0x1538
	scratch_load_dwordx4 v[58:61], off, s0  ; 16-byte Folded Reload
	s_movk_i32 s0, 0x1508
	v_fma_f32 v36, v16, v87, v36
	s_waitcnt vmcnt(2)
	v_fma_f32 v13, v16, v37, v40
	v_fmac_f32_e32 v13, v17, v38
	s_waitcnt vmcnt(1)
	v_pk_fma_f32 v[116:117], v[18:19], v[24:25], v[12:13] op_sel_hi:[0,1,1]
	scratch_load_dwordx2 v[12:13], off, s0  ; 8-byte Folded Reload
	s_waitcnt vmcnt(1)
	v_mov_b64_e32 v[24:25], v[58:59]
	v_fma_f32 v15, v16, v41, v24
	s_movk_i32 s0, 0x1548
	v_fmac_f32_e32 v15, v17, v42
	scratch_load_dwordx3 v[40:42], off, s0  ; 12-byte Folded Reload
	s_movk_i32 s0, 0x1554
	scratch_load_dwordx3 v[46:48], off, s0  ; 12-byte Folded Reload
	s_movk_i32 s0, 0x1568
	scratch_load_dwordx4 v[90:93], off, s0  ; 16-byte Folded Reload
	s_movk_i32 s0, 0x1580
	s_waitcnt vmcnt(3)
	v_pk_fma_f32 v[12:13], v[18:19], v[12:13], v[14:15] op_sel_hi:[0,1,1]
	s_waitcnt vmcnt(2)
	v_fma_f32 v37, v16, v25, v40
	s_waitcnt vmcnt(1)
	v_fma_f32 v14, v16, v41, v46
	v_fmac_f32_e32 v14, v17, v42
	scratch_load_dwordx4 v[40:43], off, s0  ; 16-byte Folded Reload
	s_waitcnt vmcnt(1)
	v_fma_f32 v24, v16, v47, v90
	v_fmac_f32_e32 v24, v17, v48
	s_movk_i32 s0, 0x1598
	s_waitcnt vmcnt(0)
	v_mov_b32_e32 v48, v42
	v_mov_b32_e32 v47, v41
	;; [unrolled: 1-line block ×3, first 2 shown]
	scratch_load_dwordx4 v[40:43], off, s0  ; 16-byte Folded Reload
	s_movk_i32 s0, 0x1560
	v_fma_f32 v46, v16, v91, v46
	s_waitcnt vmcnt(0)
	v_mov_b32_e32 v60, v42
	v_mov_b32_e32 v59, v41
	;; [unrolled: 1-line block ×3, first 2 shown]
	scratch_load_dwordx2 v[40:41], off, s0  ; 8-byte Folded Reload
	v_fma_f32 v15, v16, v47, v58
	v_fmac_f32_e32 v15, v17, v48
	s_movk_i32 s0, 0x15a8
	s_waitcnt vmcnt(0)
	v_pk_fma_f32 v[14:15], v[18:19], v[40:41], v[14:15] op_sel_hi:[0,1,1]
	scratch_load_dwordx4 v[40:43], off, s0  ; 16-byte Folded Reload
	s_movk_i32 s0, 0x1578
	s_waitcnt vmcnt(0)
	v_mov_b64_e32 v[42:43], v[40:41]
	scratch_load_dwordx2 v[40:41], off, s0  ; 8-byte Folded Reload
	v_fma_f32 v25, v16, v59, v42
	s_movk_i32 s0, 0x15b8
	v_fmac_f32_e32 v25, v17, v60
	scratch_load_dwordx3 v[58:60], off, s0  ; 12-byte Folded Reload
	s_movk_i32 s0, 0x15c4
	s_waitcnt vmcnt(1)
	v_pk_fma_f32 v[40:41], v[18:19], v[40:41], v[24:25] op_sel_hi:[0,1,1]
	scratch_load_dwordx3 v[94:96], off, s0  ; 12-byte Folded Reload
	scratch_load_dwordx2 v[24:25], off, off offset:4048 ; 8-byte Folded Reload
	s_movk_i32 s0, 0x15d0
	scratch_load_dword v4, off, s0          ; 4-byte Folded Reload
	s_waitcnt vmcnt(3)
	v_fma_f32 v47, v16, v43, v58
	s_movk_i32 s0, 0x10c0
	s_waitcnt vmcnt(1)
	v_fma_f32 v24, v16, v59, v94
	v_fmac_f32_e32 v24, v17, v60
	v_mov_b64_e32 v[38:39], v[24:25]
	scratch_load_dwordx2 v[24:25], off, off offset:4056 ; 8-byte Folded Reload
	s_waitcnt vmcnt(0)
	v_fma_f32 v24, v16, v95, v98
	v_fmac_f32_e32 v24, v17, v96
	v_fma_f32 v4, v16, v99, v4
	v_mov_b64_e32 v[48:49], v[24:25]
	scratch_load_dwordx2 v[24:25], off, off offset:4016 ; 8-byte Folded Reload
	s_waitcnt vmcnt(0)
	v_pk_fma_f32 v[42:43], v[18:19], v[24:25], v[38:39] op_sel_hi:[0,1,1]
	scratch_load_dwordx2 v[24:25], off, off offset:4008 ; 8-byte Folded Reload
	s_waitcnt vmcnt(0)
	v_pk_fma_f32 v[60:61], v[18:19], v[24:25], v[48:49] op_sel_hi:[0,1,1]
	scratch_load_dwordx2 v[24:25], off, s0  ; 8-byte Folded Reload
	s_movk_i32 s0, 0x1130
	s_waitcnt vmcnt(0)
	v_pk_fma_f32 v[62:63], v[18:19], v[24:25], v[8:9] op_sel_hi:[0,1,1]
	v_pk_fma_f32 v[8:9], v[16:17], v[44:45], v[10:11] op_sel:[1,0,0]
	scratch_load_dwordx2 v[10:11], off, s0  ; 8-byte Folded Reload
	s_movk_i32 s0, 0x11a0
	s_waitcnt vmcnt(0)
	v_pk_fma_f32 v[126:127], v[18:19], v[10:11], v[8:9] op_sel_hi:[0,1,1]
	scratch_load_dwordx2 v[8:9], off, s0    ; 8-byte Folded Reload
	s_movk_i32 s0, 0x1210
	s_waitcnt vmcnt(0)
	v_pk_fma_f32 v[110:111], v[18:19], v[8:9], v[0:1] op_sel_hi:[0,1,1]
	v_pk_fma_f32 v[0:1], v[16:17], v[56:57], v[2:3] op_sel:[1,0,0]
	scratch_load_dwordx2 v[2:3], off, s0    ; 8-byte Folded Reload
	s_movk_i32 s0, 0x1280
	s_waitcnt vmcnt(0)
	v_pk_fma_f32 v[114:115], v[18:19], v[2:3], v[0:1] op_sel_hi:[0,1,1]
	scratch_load_dwordx2 v[2:3], off, s0    ; 8-byte Folded Reload
	v_pk_fma_f32 v[0:1], v[16:17], v[64:65], v[20:21] op_sel:[1,0,0]
	s_movk_i32 s0, 0x12f0
	s_waitcnt vmcnt(0)
	v_pk_fma_f32 v[24:25], v[18:19], v[2:3], v[0:1] op_sel_hi:[0,1,1]
	scratch_load_dwordx2 v[2:3], off, s0    ; 8-byte Folded Reload
	v_pk_fma_f32 v[0:1], v[16:17], v[68:69], v[22:23] op_sel:[1,0,0]
	;; [unrolled: 5-line block ×8, first 2 shown]
	s_waitcnt vmcnt(0)
	v_pk_fma_f32 v[46:47], v[18:19], v[2:3], v[0:1] op_sel_hi:[0,1,1]
	v_mov_b32_e32 v0, v98
	v_mov_b32_e32 v1, v99
	;; [unrolled: 1-line block ×3, first 2 shown]
	scratch_store_dwordx4 off, v[0:3], off offset:4024 ; 16-byte Folded Spill
	s_nop 1
	v_pk_fma_f32 v[0:1], v[16:17], v[100:101], v[4:5] op_sel:[1,0,0]
	v_mov_b32_e32 v2, v102
	v_pk_fma_f32 v[56:57], v[18:19], v[102:103], v[0:1] op_sel_hi:[0,1,1]
	v_lshlrev_b64 v[0:1], 4, v[6:7]
	v_lshl_add_u64 v[0:1], s[22:23], 0, v[0:1]
	global_load_dwordx4 v[48:51], v[0:1], off
	v_mov_b32_e32 v0, 0x40b00000
	scratch_store_dwordx2 off, v[2:3], off offset:4040 ; 8-byte Folded Spill
	s_waitcnt vmcnt(1)
	v_cmp_gt_f32_e64 s[8:9], 0, v50
	s_nop 1
	v_cndmask_b32_e64 v69, 1.0, v0, s[8:9]
	v_mov_b32_e32 v0, 0xff7fffff
	v_cndmask_b32_e64 v95, v0, 1.0, s[8:9]
	scratch_load_dwordx4 v[36:39], off, off offset:16
	scratch_load_dwordx4 v[20:23], off, off offset:32
	;; [unrolled: 1-line block ×16, first 2 shown]
	v_cmp_lt_f32_e64 s[2:3], 0, v50
	v_cmp_eq_u32_e64 s[4:5], s37, v48
	v_cmp_eq_u32_e64 s[6:7], s38, v48
.LBB6_28:                               ;   Parent Loop BB6_27 Depth=1
                                        ; =>  This Inner Loop Header: Depth=2
	v_mov_b32_e32 v16, 0
	global_load_dwordx4 v[78:81], v16, s[30:31] offset:-8
	s_waitcnt vmcnt(0)
	v_ashrrev_i32_e32 v17, 31, v81
	v_mov_b32_e32 v16, v81
	v_lshlrev_b64 v[16:17], 4, v[16:17]
	v_lshl_add_u64 v[16:17], s[22:23], 0, v[16:17]
	global_load_dwordx4 v[16:19], v[16:17], off
	s_waitcnt vmcnt(0)
	v_add_f32_e32 v98, v49, v17
	v_div_scale_f32 v17, s[0:1], v98, v98, 1.0
	v_rcp_f32_e32 v48, v17
	v_cmp_lt_f32_e64 s[0:1], 0, v18
	s_and_b64 s[0:1], s[0:1], s[8:9]
	v_cmp_neq_f32_e64 s[10:11], 0, v18
	v_fma_f32 v58, -v17, v48, 1.0
	v_fmac_f32_e32 v48, v58, v48
	v_div_scale_f32 v58, vcc, 1.0, v98, 1.0
	v_mul_f32_e32 v59, v58, v48
	v_fma_f32 v68, -v17, v59, v58
	v_fmac_f32_e32 v59, v68, v48
	v_fma_f32 v17, -v17, v59, v58
	v_div_fmas_f32 v17, v17, v48, v59
	v_cmp_eq_u32_e32 vcc, s37, v16
	s_and_b64 vcc, vcc, s[4:5]
	v_div_fixup_f32 v96, v17, v98, 1.0
	v_cndmask_b32_e64 v59, 2.0, 4.0, vcc
	v_cndmask_b32_e32 v58, 0.5, v112, vcc
	v_cmp_eq_u32_e32 vcc, s38, v16
	s_or_b64 s[34:35], vcc, s[6:7]
	v_cmp_gt_f32_e32 vcc, 0, v18
	s_and_b64 s[12:13], vcc, s[2:3]
	v_cndmask_b32_e64 v16, v18, -v18, s[12:13]
	v_cndmask_b32_e32 v99, v95, v69, vcc
	v_cndmask_b32_e64 v17, v50, -v50, s[0:1]
	v_div_scale_f32 v18, s[0:1], v99, v99, 1.0
	v_rcp_f32_e32 v48, v18
	s_nop 0
	v_fma_f32 v68, -v18, v48, 1.0
	v_fmac_f32_e32 v48, v68, v48
	v_div_scale_f32 v68, vcc, 1.0, v99, 1.0
	v_mul_f32_e32 v94, v68, v48
	v_fma_f32 v100, -v18, v94, v68
	v_fmac_f32_e32 v94, v100, v48
	v_fma_f32 v18, -v18, v94, v68
	v_div_fmas_f32 v18, v18, v48, v94
	v_add_f32_e32 v48, v16, v17
	scratch_load_dwordx2 v[16:17], off, off offset:3844 ; 8-byte Folded Reload
	v_div_fixup_f32 v68, v18, v99, 1.0
	v_mul_f32_e32 v94, v51, v19
	v_pk_add_f32 v[18:19], v[62:63], v[80:81] op_sel_hi:[1,0] neg_lo:[0,1] neg_hi:[0,1]
	s_waitcnt vmcnt(0)
	v_pk_add_f32 v[100:101], v[16:17], v[78:79] op_sel_hi:[1,0] neg_lo:[0,1] neg_hi:[0,1]
	scratch_load_dwordx2 v[16:17], off, off offset:3852 ; 8-byte Folded Reload
	s_waitcnt vmcnt(0)
	v_pk_add_f32 v[16:17], v[16:17], v[78:79] op_sel:[0,1] neg_lo:[0,1] neg_hi:[0,1]
	s_nop 0
	v_pk_mul_f32 v[16:17], v[16:17], v[16:17]
	s_nop 0
	v_pk_fma_f32 v[16:17], v[100:101], v[100:101], v[16:17]
	s_nop 0
	v_pk_fma_f32 v[16:17], v[18:19], v[18:19], v[16:17]
	s_nop 0
	v_cmp_gt_f32_e32 vcc, s39, v17
	v_mul_f32_e32 v18, 0x4f800000, v17
	s_nop 0
	v_cndmask_b32_e32 v17, v17, v18, vcc
	v_sqrt_f32_e32 v18, v17
	s_nop 0
	v_add_u32_e32 v19, -1, v18
	v_fma_f32 v100, -v19, v18, v17
	v_cmp_ge_f32_e64 s[0:1], 0, v100
	v_add_u32_e32 v100, 1, v18
	s_nop 0
	v_cndmask_b32_e64 v19, v18, v19, s[0:1]
	v_fma_f32 v18, -v100, v18, v17
	v_cmp_lt_f32_e64 s[0:1], 0, v18
	s_nop 1
	v_cndmask_b32_e64 v18, v19, v100, s[0:1]
	v_mul_f32_e32 v19, 0x37800000, v18
	v_cndmask_b32_e32 v18, v18, v19, vcc
	v_cmp_class_f32_e32 vcc, v17, v97
	s_nop 1
	v_cndmask_b32_e32 v17, v18, v17, vcc
	v_cmp_gt_f32_e32 vcc, s39, v16
	v_mul_f32_e32 v18, 0x4f800000, v16
	s_nop 0
	v_cndmask_b32_e32 v16, v16, v18, vcc
	v_sqrt_f32_e32 v18, v16
	s_nop 0
	v_add_u32_e32 v19, -1, v18
	v_fma_f32 v100, -v19, v18, v16
	v_cmp_ge_f32_e64 s[0:1], 0, v100
	v_add_u32_e32 v100, 1, v18
	s_nop 0
	v_cndmask_b32_e64 v19, v18, v19, s[0:1]
	v_fma_f32 v18, -v100, v18, v16
	v_cmp_lt_f32_e64 s[0:1], 0, v18
	s_nop 1
	v_cndmask_b32_e64 v18, v19, v100, s[0:1]
	v_mul_f32_e32 v19, 0x37800000, v18
	v_cndmask_b32_e32 v18, v18, v19, vcc
	v_cmp_class_f32_e32 vcc, v16, v97
	s_nop 1
	v_cndmask_b32_e32 v16, v18, v16, vcc
	v_pk_add_f32 v[18:19], v[16:17], v[98:99] op_sel_hi:[1,0] neg_lo:[0,1] neg_hi:[0,1]
	v_pk_fma_f32 v[16:17], v[96:97], v[16:17], 1.0 op_sel_hi:[0,1,0] neg_lo:[1,0,0] neg_hi:[1,0,0]
	v_cmp_gt_f32_e32 vcc, 0, v18
	v_cmp_gt_f32_e64 s[0:1], 0, v19
	v_cmp_lt_f32_e64 s[12:13], v18, v59
	v_cndmask_b32_e32 v100, 0, v113, vcc
	v_cndmask_b32_e64 v101, 0, v113, s[0:1]
	v_pk_fma_f32 v[16:17], v[16:17], v[100:101], v[36:37]
	v_pk_fma_f32 v[36:37], v[58:59], v[18:19], 1.0 op_sel_hi:[0,1,0] neg_lo:[1,0,0] neg_hi:[1,0,0]
	v_cmp_lt_f32_e64 s[16:17], v19, v59
	v_cndmask_b32_e64 v37, v37, 1.0, s[0:1]
	v_cndmask_b32_e64 v36, v36, 1.0, vcc
	v_cndmask_b32_e64 v101, 0, 1.0, s[16:17]
	v_cndmask_b32_e64 v100, 0, 1.0, s[12:13]
	v_pk_mul_f32 v[36:37], v[100:101], v[36:37]
	v_cmp_lt_f32_e64 s[12:13], v19, v99
	v_pk_mul_f32 v[36:37], v[94:95], v[36:37] op_sel_hi:[0,1]
	v_cmp_lt_f32_e64 s[16:17], v18, v99
	v_cndmask_b32_e64 v37, v37, -|v37|, s[34:35]
	v_cndmask_b32_e64 v36, v36, -|v36|, s[34:35]
	s_and_b64 s[16:17], s[10:11], s[16:17]
	s_and_b64 s[12:13], s[10:11], s[12:13]
	v_pk_fma_f32 v[16:17], v[36:37], s[28:29], v[16:17] op_sel_hi:[1,0,1]
	v_pk_fma_f32 v[36:37], v[68:69], v[18:19], 1.0 op_sel_hi:[0,1,0] neg_lo:[1,0,0] neg_hi:[1,0,0]
	v_cndmask_b32_e64 v19, 0, 1.0, s[12:13]
	v_cndmask_b32_e64 v18, 0, 1.0, s[16:17]
	v_pk_mul_f32 v[18:19], v[48:49], v[18:19] op_sel_hi:[0,1]
	v_cndmask_b32_e64 v37, v37, 1.0, s[0:1]
	v_cndmask_b32_e64 v36, v36, 1.0, vcc
	v_pk_fma_f32 v[36:37], v[36:37], v[18:19], v[16:17]
	scratch_load_dwordx2 v[16:17], off, off offset:3860 ; 8-byte Folded Reload
	v_pk_add_f32 v[18:19], v[126:127], v[80:81] op_sel_hi:[1,0] neg_lo:[0,1] neg_hi:[0,1]
	s_waitcnt vmcnt(0)
	v_pk_add_f32 v[100:101], v[16:17], v[78:79] op_sel_hi:[1,0] neg_lo:[0,1] neg_hi:[0,1]
	scratch_load_dwordx2 v[16:17], off, off offset:3868 ; 8-byte Folded Reload
	s_waitcnt vmcnt(0)
	v_pk_add_f32 v[16:17], v[16:17], v[78:79] op_sel:[0,1] neg_lo:[0,1] neg_hi:[0,1]
	s_nop 0
	v_pk_mul_f32 v[16:17], v[16:17], v[16:17]
	s_nop 0
	v_pk_fma_f32 v[16:17], v[100:101], v[100:101], v[16:17]
	s_nop 0
	v_pk_fma_f32 v[16:17], v[18:19], v[18:19], v[16:17]
	s_nop 0
	v_cmp_gt_f32_e32 vcc, s39, v17
	v_mul_f32_e32 v18, 0x4f800000, v17
	s_nop 0
	v_cndmask_b32_e32 v17, v17, v18, vcc
	v_sqrt_f32_e32 v18, v17
	s_nop 0
	v_add_u32_e32 v19, -1, v18
	v_fma_f32 v81, -v19, v18, v17
	v_cmp_ge_f32_e64 s[0:1], 0, v81
	v_add_u32_e32 v81, 1, v18
	s_nop 0
	v_cndmask_b32_e64 v19, v18, v19, s[0:1]
	v_fma_f32 v18, -v81, v18, v17
	v_cmp_lt_f32_e64 s[0:1], 0, v18
	s_nop 1
	v_cndmask_b32_e64 v18, v19, v81, s[0:1]
	v_mul_f32_e32 v19, 0x37800000, v18
	v_cndmask_b32_e32 v18, v18, v19, vcc
	v_cmp_class_f32_e32 vcc, v17, v97
	s_nop 1
	v_cndmask_b32_e32 v101, v18, v17, vcc
	v_cmp_gt_f32_e32 vcc, s39, v16
	v_mul_f32_e32 v17, 0x4f800000, v16
	s_nop 0
	v_cndmask_b32_e32 v16, v16, v17, vcc
	v_sqrt_f32_e32 v17, v16
	s_nop 0
	v_add_u32_e32 v18, -1, v17
	v_fma_f32 v19, -v18, v17, v16
	v_cmp_ge_f32_e64 s[0:1], 0, v19
	v_add_u32_e32 v19, 1, v17
	s_nop 0
	v_cndmask_b32_e64 v18, v17, v18, s[0:1]
	v_fma_f32 v17, -v19, v17, v16
	v_cmp_lt_f32_e64 s[0:1], 0, v17
	s_nop 1
	v_cndmask_b32_e64 v17, v18, v19, s[0:1]
	v_mul_f32_e32 v18, 0x37800000, v17
	v_cndmask_b32_e32 v17, v17, v18, vcc
	v_cmp_class_f32_e32 vcc, v16, v97
	s_nop 1
	v_cndmask_b32_e32 v100, v17, v16, vcc
	v_pk_add_f32 v[16:17], v[100:101], v[98:99] op_sel_hi:[1,0] neg_lo:[0,1] neg_hi:[0,1]
	v_pk_fma_f32 v[18:19], v[96:97], v[100:101], 1.0 op_sel_hi:[0,1,0] neg_lo:[1,0,0] neg_hi:[1,0,0]
	v_cmp_gt_f32_e32 vcc, 0, v16
	v_cmp_gt_f32_e64 s[0:1], 0, v17
	v_cmp_lt_f32_e64 s[12:13], v16, v59
	v_cndmask_b32_e32 v100, 0, v113, vcc
	v_cndmask_b32_e64 v101, 0, v113, s[0:1]
	v_pk_fma_f32 v[18:19], v[18:19], v[100:101], v[38:39]
	v_pk_fma_f32 v[38:39], v[58:59], v[16:17], 1.0 op_sel_hi:[0,1,0] neg_lo:[1,0,0] neg_hi:[1,0,0]
	v_cmp_lt_f32_e64 s[16:17], v17, v59
	v_cndmask_b32_e64 v39, v39, 1.0, s[0:1]
	v_cndmask_b32_e64 v38, v38, 1.0, vcc
	v_cndmask_b32_e64 v101, 0, 1.0, s[16:17]
	v_cndmask_b32_e64 v100, 0, 1.0, s[12:13]
	v_pk_mul_f32 v[38:39], v[100:101], v[38:39]
	v_cmp_lt_f32_e64 s[12:13], v17, v99
	v_pk_mul_f32 v[38:39], v[94:95], v[38:39] op_sel_hi:[0,1]
	v_cmp_lt_f32_e64 s[16:17], v16, v99
	v_cndmask_b32_e64 v39, v39, -|v39|, s[34:35]
	v_cndmask_b32_e64 v38, v38, -|v38|, s[34:35]
	s_and_b64 s[16:17], s[10:11], s[16:17]
	s_and_b64 s[12:13], s[10:11], s[12:13]
	v_pk_fma_f32 v[18:19], v[38:39], s[28:29], v[18:19] op_sel_hi:[1,0,1]
	v_pk_fma_f32 v[38:39], v[68:69], v[16:17], 1.0 op_sel_hi:[0,1,0] neg_lo:[1,0,0] neg_hi:[1,0,0]
	v_cndmask_b32_e64 v17, 0, 1.0, s[12:13]
	v_cndmask_b32_e64 v16, 0, 1.0, s[16:17]
	v_pk_mul_f32 v[16:17], v[48:49], v[16:17] op_sel_hi:[0,1]
	v_cndmask_b32_e64 v39, v39, 1.0, s[0:1]
	v_cndmask_b32_e64 v38, v38, 1.0, vcc
	v_pk_fma_f32 v[38:39], v[38:39], v[16:17], v[18:19]
	scratch_load_dwordx2 v[16:17], off, off offset:3876 ; 8-byte Folded Reload
	scratch_load_dwordx2 v[18:19], off, off offset:3884 ; 8-byte Folded Reload
	v_pk_add_f32 v[100:101], v[110:111], v[80:81] op_sel_hi:[1,0] neg_lo:[0,1] neg_hi:[0,1]
	s_waitcnt vmcnt(1)
	v_pk_add_f32 v[16:17], v[16:17], v[78:79] op_sel_hi:[1,0] neg_lo:[0,1] neg_hi:[0,1]
	s_waitcnt vmcnt(0)
	v_pk_add_f32 v[18:19], v[18:19], v[78:79] op_sel:[0,1] neg_lo:[0,1] neg_hi:[0,1]
	s_nop 0
	v_pk_mul_f32 v[18:19], v[18:19], v[18:19]
	s_nop 0
	v_pk_fma_f32 v[16:17], v[16:17], v[16:17], v[18:19]
	s_nop 0
	v_pk_fma_f32 v[16:17], v[100:101], v[100:101], v[16:17]
	s_nop 0
	v_cmp_gt_f32_e32 vcc, s39, v17
	v_mul_f32_e32 v18, 0x4f800000, v17
	s_nop 0
	v_cndmask_b32_e32 v17, v17, v18, vcc
	v_sqrt_f32_e32 v18, v17
	s_nop 0
	v_add_u32_e32 v19, -1, v18
	v_fma_f32 v81, -v19, v18, v17
	v_cmp_ge_f32_e64 s[0:1], 0, v81
	v_add_u32_e32 v81, 1, v18
	s_nop 0
	v_cndmask_b32_e64 v19, v18, v19, s[0:1]
	v_fma_f32 v18, -v81, v18, v17
	v_cmp_lt_f32_e64 s[0:1], 0, v18
	s_nop 1
	v_cndmask_b32_e64 v18, v19, v81, s[0:1]
	v_mul_f32_e32 v19, 0x37800000, v18
	v_cndmask_b32_e32 v18, v18, v19, vcc
	v_cmp_class_f32_e32 vcc, v17, v97
	s_nop 1
	v_cndmask_b32_e32 v17, v18, v17, vcc
	v_cmp_gt_f32_e32 vcc, s39, v16
	v_mul_f32_e32 v18, 0x4f800000, v16
	s_nop 0
	v_cndmask_b32_e32 v16, v16, v18, vcc
	v_sqrt_f32_e32 v18, v16
	s_nop 0
	v_add_u32_e32 v19, -1, v18
	v_fma_f32 v81, -v19, v18, v16
	v_cmp_ge_f32_e64 s[0:1], 0, v81
	v_add_u32_e32 v81, 1, v18
	s_nop 0
	v_cndmask_b32_e64 v19, v18, v19, s[0:1]
	v_fma_f32 v18, -v81, v18, v16
	v_cmp_lt_f32_e64 s[0:1], 0, v18
	s_nop 1
	v_cndmask_b32_e64 v18, v19, v81, s[0:1]
	v_mul_f32_e32 v19, 0x37800000, v18
	v_cndmask_b32_e32 v18, v18, v19, vcc
	v_cmp_class_f32_e32 vcc, v16, v97
	s_nop 1
	v_cndmask_b32_e32 v16, v18, v16, vcc
	v_pk_add_f32 v[18:19], v[16:17], v[98:99] op_sel_hi:[1,0] neg_lo:[0,1] neg_hi:[0,1]
	v_pk_fma_f32 v[16:17], v[96:97], v[16:17], 1.0 op_sel_hi:[0,1,0] neg_lo:[1,0,0] neg_hi:[1,0,0]
	v_cmp_gt_f32_e32 vcc, 0, v18
	v_cmp_gt_f32_e64 s[0:1], 0, v19
	v_cmp_lt_f32_e64 s[12:13], v18, v59
	v_cndmask_b32_e32 v100, 0, v113, vcc
	v_cndmask_b32_e64 v101, 0, v113, s[0:1]
	v_pk_fma_f32 v[16:17], v[16:17], v[100:101], v[20:21]
	v_pk_fma_f32 v[20:21], v[58:59], v[18:19], 1.0 op_sel_hi:[0,1,0] neg_lo:[1,0,0] neg_hi:[1,0,0]
	v_cmp_lt_f32_e64 s[16:17], v19, v59
	v_cndmask_b32_e64 v21, v21, 1.0, s[0:1]
	v_cndmask_b32_e64 v20, v20, 1.0, vcc
	v_cndmask_b32_e64 v101, 0, 1.0, s[16:17]
	v_cndmask_b32_e64 v100, 0, 1.0, s[12:13]
	v_pk_mul_f32 v[20:21], v[100:101], v[20:21]
	v_cmp_lt_f32_e64 s[12:13], v19, v99
	v_pk_mul_f32 v[20:21], v[94:95], v[20:21] op_sel_hi:[0,1]
	v_cmp_lt_f32_e64 s[16:17], v18, v99
	v_cndmask_b32_e64 v21, v21, -|v21|, s[34:35]
	v_cndmask_b32_e64 v20, v20, -|v20|, s[34:35]
	s_and_b64 s[16:17], s[10:11], s[16:17]
	s_and_b64 s[12:13], s[10:11], s[12:13]
	v_pk_fma_f32 v[16:17], v[20:21], s[28:29], v[16:17] op_sel_hi:[1,0,1]
	v_pk_fma_f32 v[20:21], v[68:69], v[18:19], 1.0 op_sel_hi:[0,1,0] neg_lo:[1,0,0] neg_hi:[1,0,0]
	v_cndmask_b32_e64 v19, 0, 1.0, s[12:13]
	v_cndmask_b32_e64 v18, 0, 1.0, s[16:17]
	v_pk_mul_f32 v[18:19], v[48:49], v[18:19] op_sel_hi:[0,1]
	v_cndmask_b32_e64 v21, v21, 1.0, s[0:1]
	v_cndmask_b32_e64 v20, v20, 1.0, vcc
	v_pk_fma_f32 v[20:21], v[20:21], v[18:19], v[16:17]
	scratch_load_dwordx2 v[16:17], off, off offset:3892 ; 8-byte Folded Reload
	v_pk_add_f32 v[18:19], v[114:115], v[80:81] op_sel_hi:[1,0] neg_lo:[0,1] neg_hi:[0,1]
	s_waitcnt vmcnt(0)
	v_pk_add_f32 v[100:101], v[16:17], v[78:79] op_sel_hi:[1,0] neg_lo:[0,1] neg_hi:[0,1]
	scratch_load_dwordx2 v[16:17], off, off offset:3900 ; 8-byte Folded Reload
	s_waitcnt vmcnt(0)
	v_pk_add_f32 v[16:17], v[16:17], v[78:79] op_sel:[0,1] neg_lo:[0,1] neg_hi:[0,1]
	s_nop 0
	v_pk_mul_f32 v[16:17], v[16:17], v[16:17]
	s_nop 0
	v_pk_fma_f32 v[16:17], v[100:101], v[100:101], v[16:17]
	s_nop 0
	v_pk_fma_f32 v[16:17], v[18:19], v[18:19], v[16:17]
	s_nop 0
	v_cmp_gt_f32_e32 vcc, s39, v17
	v_mul_f32_e32 v18, 0x4f800000, v17
	s_nop 0
	v_cndmask_b32_e32 v17, v17, v18, vcc
	v_sqrt_f32_e32 v18, v17
	s_nop 0
	v_add_u32_e32 v19, -1, v18
	v_fma_f32 v81, -v19, v18, v17
	v_cmp_ge_f32_e64 s[0:1], 0, v81
	v_add_u32_e32 v81, 1, v18
	s_nop 0
	v_cndmask_b32_e64 v19, v18, v19, s[0:1]
	v_fma_f32 v18, -v81, v18, v17
	v_cmp_lt_f32_e64 s[0:1], 0, v18
	s_nop 1
	v_cndmask_b32_e64 v18, v19, v81, s[0:1]
	v_mul_f32_e32 v19, 0x37800000, v18
	v_cndmask_b32_e32 v18, v18, v19, vcc
	v_cmp_class_f32_e32 vcc, v17, v97
	s_nop 1
	v_cndmask_b32_e32 v101, v18, v17, vcc
	v_cmp_gt_f32_e32 vcc, s39, v16
	v_mul_f32_e32 v17, 0x4f800000, v16
	s_nop 0
	v_cndmask_b32_e32 v16, v16, v17, vcc
	v_sqrt_f32_e32 v17, v16
	s_nop 0
	v_add_u32_e32 v18, -1, v17
	v_fma_f32 v19, -v18, v17, v16
	v_cmp_ge_f32_e64 s[0:1], 0, v19
	v_add_u32_e32 v19, 1, v17
	s_nop 0
	v_cndmask_b32_e64 v18, v17, v18, s[0:1]
	v_fma_f32 v17, -v19, v17, v16
	v_cmp_lt_f32_e64 s[0:1], 0, v17
	s_nop 1
	v_cndmask_b32_e64 v17, v18, v19, s[0:1]
	v_mul_f32_e32 v18, 0x37800000, v17
	v_cndmask_b32_e32 v17, v17, v18, vcc
	v_cmp_class_f32_e32 vcc, v16, v97
	s_nop 1
	v_cndmask_b32_e32 v100, v17, v16, vcc
	v_pk_add_f32 v[16:17], v[100:101], v[98:99] op_sel_hi:[1,0] neg_lo:[0,1] neg_hi:[0,1]
	v_pk_fma_f32 v[18:19], v[96:97], v[100:101], 1.0 op_sel_hi:[0,1,0] neg_lo:[1,0,0] neg_hi:[1,0,0]
	v_cmp_gt_f32_e32 vcc, 0, v16
	v_cmp_gt_f32_e64 s[0:1], 0, v17
	v_cmp_lt_f32_e64 s[12:13], v16, v59
	v_cndmask_b32_e32 v100, 0, v113, vcc
	v_cndmask_b32_e64 v101, 0, v113, s[0:1]
	v_pk_fma_f32 v[18:19], v[18:19], v[100:101], v[22:23]
	v_pk_fma_f32 v[22:23], v[58:59], v[16:17], 1.0 op_sel_hi:[0,1,0] neg_lo:[1,0,0] neg_hi:[1,0,0]
	v_cmp_lt_f32_e64 s[16:17], v17, v59
	v_cndmask_b32_e64 v23, v23, 1.0, s[0:1]
	v_cndmask_b32_e64 v22, v22, 1.0, vcc
	v_cndmask_b32_e64 v101, 0, 1.0, s[16:17]
	v_cndmask_b32_e64 v100, 0, 1.0, s[12:13]
	v_pk_mul_f32 v[22:23], v[100:101], v[22:23]
	v_cmp_lt_f32_e64 s[12:13], v17, v99
	v_pk_mul_f32 v[22:23], v[94:95], v[22:23] op_sel_hi:[0,1]
	v_cmp_lt_f32_e64 s[16:17], v16, v99
	v_cndmask_b32_e64 v23, v23, -|v23|, s[34:35]
	v_cndmask_b32_e64 v22, v22, -|v22|, s[34:35]
	s_and_b64 s[16:17], s[10:11], s[16:17]
	s_and_b64 s[12:13], s[10:11], s[12:13]
	v_pk_fma_f32 v[18:19], v[22:23], s[28:29], v[18:19] op_sel_hi:[1,0,1]
	v_pk_fma_f32 v[22:23], v[68:69], v[16:17], 1.0 op_sel_hi:[0,1,0] neg_lo:[1,0,0] neg_hi:[1,0,0]
	v_cndmask_b32_e64 v17, 0, 1.0, s[12:13]
	v_cndmask_b32_e64 v16, 0, 1.0, s[16:17]
	v_pk_mul_f32 v[16:17], v[48:49], v[16:17] op_sel_hi:[0,1]
	v_cndmask_b32_e64 v23, v23, 1.0, s[0:1]
	v_cndmask_b32_e64 v22, v22, 1.0, vcc
	v_pk_fma_f32 v[22:23], v[22:23], v[16:17], v[18:19]
	scratch_load_dwordx2 v[16:17], off, off offset:3908 ; 8-byte Folded Reload
	scratch_load_dwordx2 v[18:19], off, off offset:3916 ; 8-byte Folded Reload
	v_pk_add_f32 v[100:101], v[24:25], v[80:81] op_sel_hi:[1,0] neg_lo:[0,1] neg_hi:[0,1]
	s_waitcnt vmcnt(1)
	v_pk_add_f32 v[16:17], v[16:17], v[78:79] op_sel_hi:[1,0] neg_lo:[0,1] neg_hi:[0,1]
	s_waitcnt vmcnt(0)
	v_pk_add_f32 v[18:19], v[18:19], v[78:79] op_sel:[0,1] neg_lo:[0,1] neg_hi:[0,1]
	s_nop 0
	v_pk_mul_f32 v[18:19], v[18:19], v[18:19]
	s_nop 0
	v_pk_fma_f32 v[16:17], v[16:17], v[16:17], v[18:19]
	s_nop 0
	v_pk_fma_f32 v[16:17], v[100:101], v[100:101], v[16:17]
	s_nop 0
	v_cmp_gt_f32_e32 vcc, s39, v17
	v_mul_f32_e32 v18, 0x4f800000, v17
	s_nop 0
	v_cndmask_b32_e32 v17, v17, v18, vcc
	v_sqrt_f32_e32 v18, v17
	s_nop 0
	v_add_u32_e32 v19, -1, v18
	v_fma_f32 v81, -v19, v18, v17
	v_cmp_ge_f32_e64 s[0:1], 0, v81
	v_add_u32_e32 v81, 1, v18
	s_nop 0
	v_cndmask_b32_e64 v19, v18, v19, s[0:1]
	v_fma_f32 v18, -v81, v18, v17
	v_cmp_lt_f32_e64 s[0:1], 0, v18
	s_nop 1
	v_cndmask_b32_e64 v18, v19, v81, s[0:1]
	v_mul_f32_e32 v19, 0x37800000, v18
	v_cndmask_b32_e32 v18, v18, v19, vcc
	v_cmp_class_f32_e32 vcc, v17, v97
	s_nop 1
	v_cndmask_b32_e32 v17, v18, v17, vcc
	v_cmp_gt_f32_e32 vcc, s39, v16
	v_mul_f32_e32 v18, 0x4f800000, v16
	s_nop 0
	v_cndmask_b32_e32 v16, v16, v18, vcc
	v_sqrt_f32_e32 v18, v16
	s_nop 0
	v_add_u32_e32 v19, -1, v18
	v_fma_f32 v81, -v19, v18, v16
	v_cmp_ge_f32_e64 s[0:1], 0, v81
	v_add_u32_e32 v81, 1, v18
	s_nop 0
	v_cndmask_b32_e64 v19, v18, v19, s[0:1]
	v_fma_f32 v18, -v81, v18, v16
	v_cmp_lt_f32_e64 s[0:1], 0, v18
	s_nop 1
	v_cndmask_b32_e64 v18, v19, v81, s[0:1]
	v_mul_f32_e32 v19, 0x37800000, v18
	v_cndmask_b32_e32 v18, v18, v19, vcc
	v_cmp_class_f32_e32 vcc, v16, v97
	s_nop 1
	v_cndmask_b32_e32 v16, v18, v16, vcc
	v_pk_add_f32 v[18:19], v[16:17], v[98:99] op_sel_hi:[1,0] neg_lo:[0,1] neg_hi:[0,1]
	v_pk_fma_f32 v[16:17], v[96:97], v[16:17], 1.0 op_sel_hi:[0,1,0] neg_lo:[1,0,0] neg_hi:[1,0,0]
	v_cmp_gt_f32_e32 vcc, 0, v18
	v_cmp_gt_f32_e64 s[0:1], 0, v19
	v_cmp_lt_f32_e64 s[12:13], v18, v59
	v_cndmask_b32_e32 v100, 0, v113, vcc
	v_cndmask_b32_e64 v101, 0, v113, s[0:1]
	v_pk_fma_f32 v[4:5], v[16:17], v[100:101], v[4:5]
	v_pk_fma_f32 v[16:17], v[58:59], v[18:19], 1.0 op_sel_hi:[0,1,0] neg_lo:[1,0,0] neg_hi:[1,0,0]
	v_cmp_lt_f32_e64 s[16:17], v19, v59
	v_cndmask_b32_e64 v17, v17, 1.0, s[0:1]
	v_cndmask_b32_e64 v16, v16, 1.0, vcc
	v_cndmask_b32_e64 v101, 0, 1.0, s[16:17]
	v_cndmask_b32_e64 v100, 0, 1.0, s[12:13]
	v_pk_mul_f32 v[16:17], v[100:101], v[16:17]
	v_cmp_lt_f32_e64 s[12:13], v19, v99
	v_pk_mul_f32 v[16:17], v[94:95], v[16:17] op_sel_hi:[0,1]
	v_cmp_lt_f32_e64 s[16:17], v18, v99
	v_cndmask_b32_e64 v17, v17, -|v17|, s[34:35]
	v_cndmask_b32_e64 v16, v16, -|v16|, s[34:35]
	s_and_b64 s[16:17], s[10:11], s[16:17]
	s_and_b64 s[12:13], s[10:11], s[12:13]
	v_pk_fma_f32 v[4:5], v[16:17], s[28:29], v[4:5] op_sel_hi:[1,0,1]
	v_pk_fma_f32 v[16:17], v[68:69], v[18:19], 1.0 op_sel_hi:[0,1,0] neg_lo:[1,0,0] neg_hi:[1,0,0]
	v_cndmask_b32_e64 v19, 0, 1.0, s[12:13]
	v_cndmask_b32_e64 v18, 0, 1.0, s[16:17]
	v_pk_mul_f32 v[18:19], v[48:49], v[18:19] op_sel_hi:[0,1]
	v_cndmask_b32_e64 v17, v17, 1.0, s[0:1]
	v_cndmask_b32_e64 v16, v16, 1.0, vcc
	v_pk_fma_f32 v[4:5], v[16:17], v[18:19], v[4:5]
	scratch_load_dwordx2 v[16:17], off, off offset:3924 ; 8-byte Folded Reload
	v_pk_add_f32 v[18:19], v[26:27], v[80:81] op_sel_hi:[1,0] neg_lo:[0,1] neg_hi:[0,1]
	s_waitcnt vmcnt(0)
	v_pk_add_f32 v[100:101], v[16:17], v[78:79] op_sel_hi:[1,0] neg_lo:[0,1] neg_hi:[0,1]
	scratch_load_dwordx2 v[16:17], off, off offset:3932 ; 8-byte Folded Reload
	s_waitcnt vmcnt(0)
	v_pk_add_f32 v[16:17], v[16:17], v[78:79] op_sel:[0,1] neg_lo:[0,1] neg_hi:[0,1]
	s_nop 0
	v_pk_mul_f32 v[16:17], v[16:17], v[16:17]
	s_nop 0
	v_pk_fma_f32 v[16:17], v[100:101], v[100:101], v[16:17]
	s_nop 0
	v_pk_fma_f32 v[16:17], v[18:19], v[18:19], v[16:17]
	s_nop 0
	v_cmp_gt_f32_e32 vcc, s39, v17
	v_mul_f32_e32 v18, 0x4f800000, v17
	s_nop 0
	v_cndmask_b32_e32 v17, v17, v18, vcc
	v_sqrt_f32_e32 v18, v17
	s_nop 0
	v_add_u32_e32 v19, -1, v18
	v_fma_f32 v81, -v19, v18, v17
	v_cmp_ge_f32_e64 s[0:1], 0, v81
	v_add_u32_e32 v81, 1, v18
	s_nop 0
	v_cndmask_b32_e64 v19, v18, v19, s[0:1]
	v_fma_f32 v18, -v81, v18, v17
	v_cmp_lt_f32_e64 s[0:1], 0, v18
	s_nop 1
	v_cndmask_b32_e64 v18, v19, v81, s[0:1]
	v_mul_f32_e32 v19, 0x37800000, v18
	v_cndmask_b32_e32 v18, v18, v19, vcc
	v_cmp_class_f32_e32 vcc, v17, v97
	s_nop 1
	v_cndmask_b32_e32 v101, v18, v17, vcc
	v_cmp_gt_f32_e32 vcc, s39, v16
	v_mul_f32_e32 v17, 0x4f800000, v16
	s_nop 0
	v_cndmask_b32_e32 v16, v16, v17, vcc
	v_sqrt_f32_e32 v17, v16
	s_nop 0
	v_add_u32_e32 v18, -1, v17
	v_fma_f32 v19, -v18, v17, v16
	v_cmp_ge_f32_e64 s[0:1], 0, v19
	v_add_u32_e32 v19, 1, v17
	s_nop 0
	v_cndmask_b32_e64 v18, v17, v18, s[0:1]
	v_fma_f32 v17, -v19, v17, v16
	v_cmp_lt_f32_e64 s[0:1], 0, v17
	s_nop 1
	v_cndmask_b32_e64 v17, v18, v19, s[0:1]
	v_mul_f32_e32 v18, 0x37800000, v17
	v_cndmask_b32_e32 v17, v17, v18, vcc
	v_cmp_class_f32_e32 vcc, v16, v97
	s_nop 1
	v_cndmask_b32_e32 v100, v17, v16, vcc
	v_pk_add_f32 v[16:17], v[100:101], v[98:99] op_sel_hi:[1,0] neg_lo:[0,1] neg_hi:[0,1]
	v_pk_fma_f32 v[18:19], v[96:97], v[100:101], 1.0 op_sel_hi:[0,1,0] neg_lo:[1,0,0] neg_hi:[1,0,0]
	v_cmp_gt_f32_e32 vcc, 0, v16
	v_cmp_gt_f32_e64 s[0:1], 0, v17
	v_cmp_lt_f32_e64 s[12:13], v16, v59
	v_cndmask_b32_e32 v100, 0, v113, vcc
	v_cndmask_b32_e64 v101, 0, v113, s[0:1]
	v_pk_fma_f32 v[6:7], v[18:19], v[100:101], v[6:7]
	v_pk_fma_f32 v[18:19], v[58:59], v[16:17], 1.0 op_sel_hi:[0,1,0] neg_lo:[1,0,0] neg_hi:[1,0,0]
	v_cmp_lt_f32_e64 s[16:17], v17, v59
	v_cndmask_b32_e64 v19, v19, 1.0, s[0:1]
	v_cndmask_b32_e64 v18, v18, 1.0, vcc
	v_cndmask_b32_e64 v101, 0, 1.0, s[16:17]
	v_cndmask_b32_e64 v100, 0, 1.0, s[12:13]
	v_pk_mul_f32 v[18:19], v[100:101], v[18:19]
	v_cmp_lt_f32_e64 s[12:13], v17, v99
	v_pk_mul_f32 v[18:19], v[94:95], v[18:19] op_sel_hi:[0,1]
	v_cmp_lt_f32_e64 s[16:17], v16, v99
	v_cndmask_b32_e64 v19, v19, -|v19|, s[34:35]
	v_cndmask_b32_e64 v18, v18, -|v18|, s[34:35]
	s_and_b64 s[16:17], s[10:11], s[16:17]
	s_and_b64 s[12:13], s[10:11], s[12:13]
	v_pk_fma_f32 v[6:7], v[18:19], s[28:29], v[6:7] op_sel_hi:[1,0,1]
	v_pk_fma_f32 v[18:19], v[68:69], v[16:17], 1.0 op_sel_hi:[0,1,0] neg_lo:[1,0,0] neg_hi:[1,0,0]
	v_cndmask_b32_e64 v17, 0, 1.0, s[12:13]
	v_cndmask_b32_e64 v16, 0, 1.0, s[16:17]
	v_pk_mul_f32 v[16:17], v[48:49], v[16:17] op_sel_hi:[0,1]
	v_cndmask_b32_e64 v19, v19, 1.0, s[0:1]
	v_cndmask_b32_e64 v18, v18, 1.0, vcc
	v_pk_fma_f32 v[6:7], v[18:19], v[16:17], v[6:7]
	scratch_load_dwordx2 v[16:17], off, off offset:3940 ; 8-byte Folded Reload
	scratch_load_dwordx2 v[18:19], off, off offset:3948 ; 8-byte Folded Reload
	v_pk_add_f32 v[100:101], v[28:29], v[80:81] op_sel_hi:[1,0] neg_lo:[0,1] neg_hi:[0,1]
	s_waitcnt vmcnt(1)
	v_pk_add_f32 v[16:17], v[16:17], v[78:79] op_sel_hi:[1,0] neg_lo:[0,1] neg_hi:[0,1]
	s_waitcnt vmcnt(0)
	v_pk_add_f32 v[18:19], v[18:19], v[78:79] op_sel:[0,1] neg_lo:[0,1] neg_hi:[0,1]
	s_nop 0
	v_pk_mul_f32 v[18:19], v[18:19], v[18:19]
	s_nop 0
	v_pk_fma_f32 v[16:17], v[16:17], v[16:17], v[18:19]
	s_nop 0
	v_pk_fma_f32 v[16:17], v[100:101], v[100:101], v[16:17]
	s_nop 0
	v_cmp_gt_f32_e32 vcc, s39, v17
	v_mul_f32_e32 v18, 0x4f800000, v17
	s_nop 0
	v_cndmask_b32_e32 v17, v17, v18, vcc
	v_sqrt_f32_e32 v18, v17
	s_nop 0
	v_add_u32_e32 v19, -1, v18
	v_fma_f32 v81, -v19, v18, v17
	v_cmp_ge_f32_e64 s[0:1], 0, v81
	v_add_u32_e32 v81, 1, v18
	s_nop 0
	v_cndmask_b32_e64 v19, v18, v19, s[0:1]
	v_fma_f32 v18, -v81, v18, v17
	v_cmp_lt_f32_e64 s[0:1], 0, v18
	s_nop 1
	v_cndmask_b32_e64 v18, v19, v81, s[0:1]
	v_mul_f32_e32 v19, 0x37800000, v18
	v_cndmask_b32_e32 v18, v18, v19, vcc
	v_cmp_class_f32_e32 vcc, v17, v97
	s_nop 1
	v_cndmask_b32_e32 v17, v18, v17, vcc
	v_cmp_gt_f32_e32 vcc, s39, v16
	v_mul_f32_e32 v18, 0x4f800000, v16
	s_nop 0
	v_cndmask_b32_e32 v16, v16, v18, vcc
	v_sqrt_f32_e32 v18, v16
	s_nop 0
	v_add_u32_e32 v19, -1, v18
	v_fma_f32 v81, -v19, v18, v16
	v_cmp_ge_f32_e64 s[0:1], 0, v81
	v_add_u32_e32 v81, 1, v18
	s_nop 0
	v_cndmask_b32_e64 v19, v18, v19, s[0:1]
	v_fma_f32 v18, -v81, v18, v16
	v_cmp_lt_f32_e64 s[0:1], 0, v18
	s_nop 1
	v_cndmask_b32_e64 v18, v19, v81, s[0:1]
	v_mul_f32_e32 v19, 0x37800000, v18
	v_cndmask_b32_e32 v18, v18, v19, vcc
	v_cmp_class_f32_e32 vcc, v16, v97
	s_nop 1
	v_cndmask_b32_e32 v16, v18, v16, vcc
	v_pk_add_f32 v[18:19], v[16:17], v[98:99] op_sel_hi:[1,0] neg_lo:[0,1] neg_hi:[0,1]
	v_pk_fma_f32 v[16:17], v[96:97], v[16:17], 1.0 op_sel_hi:[0,1,0] neg_lo:[1,0,0] neg_hi:[1,0,0]
	v_cmp_gt_f32_e32 vcc, 0, v18
	v_cmp_gt_f32_e64 s[0:1], 0, v19
	v_cmp_lt_f32_e64 s[12:13], v18, v59
	v_cndmask_b32_e32 v100, 0, v113, vcc
	v_cndmask_b32_e64 v101, 0, v113, s[0:1]
	v_pk_fma_f32 v[8:9], v[16:17], v[100:101], v[8:9]
	v_pk_fma_f32 v[16:17], v[58:59], v[18:19], 1.0 op_sel_hi:[0,1,0] neg_lo:[1,0,0] neg_hi:[1,0,0]
	v_cmp_lt_f32_e64 s[16:17], v19, v59
	v_cndmask_b32_e64 v17, v17, 1.0, s[0:1]
	v_cndmask_b32_e64 v16, v16, 1.0, vcc
	v_cndmask_b32_e64 v101, 0, 1.0, s[16:17]
	v_cndmask_b32_e64 v100, 0, 1.0, s[12:13]
	v_pk_mul_f32 v[16:17], v[100:101], v[16:17]
	v_cmp_lt_f32_e64 s[12:13], v19, v99
	v_pk_mul_f32 v[16:17], v[94:95], v[16:17] op_sel_hi:[0,1]
	v_cmp_lt_f32_e64 s[16:17], v18, v99
	v_cndmask_b32_e64 v17, v17, -|v17|, s[34:35]
	v_cndmask_b32_e64 v16, v16, -|v16|, s[34:35]
	s_and_b64 s[16:17], s[10:11], s[16:17]
	s_and_b64 s[12:13], s[10:11], s[12:13]
	v_pk_fma_f32 v[8:9], v[16:17], s[28:29], v[8:9] op_sel_hi:[1,0,1]
	v_pk_fma_f32 v[16:17], v[68:69], v[18:19], 1.0 op_sel_hi:[0,1,0] neg_lo:[1,0,0] neg_hi:[1,0,0]
	v_cndmask_b32_e64 v19, 0, 1.0, s[12:13]
	v_cndmask_b32_e64 v18, 0, 1.0, s[16:17]
	v_pk_mul_f32 v[18:19], v[48:49], v[18:19] op_sel_hi:[0,1]
	v_cndmask_b32_e64 v17, v17, 1.0, s[0:1]
	v_cndmask_b32_e64 v16, v16, 1.0, vcc
	v_pk_fma_f32 v[8:9], v[16:17], v[18:19], v[8:9]
	scratch_load_dwordx2 v[16:17], off, off offset:3956 ; 8-byte Folded Reload
	v_pk_add_f32 v[18:19], v[30:31], v[80:81] op_sel_hi:[1,0] neg_lo:[0,1] neg_hi:[0,1]
	s_waitcnt vmcnt(0)
	v_pk_add_f32 v[100:101], v[16:17], v[78:79] op_sel_hi:[1,0] neg_lo:[0,1] neg_hi:[0,1]
	scratch_load_dwordx2 v[16:17], off, off offset:3964 ; 8-byte Folded Reload
	s_waitcnt vmcnt(0)
	v_pk_add_f32 v[16:17], v[16:17], v[78:79] op_sel:[0,1] neg_lo:[0,1] neg_hi:[0,1]
	s_nop 0
	v_pk_mul_f32 v[16:17], v[16:17], v[16:17]
	s_nop 0
	v_pk_fma_f32 v[16:17], v[100:101], v[100:101], v[16:17]
	s_nop 0
	v_pk_fma_f32 v[16:17], v[18:19], v[18:19], v[16:17]
	s_nop 0
	v_cmp_gt_f32_e32 vcc, s39, v17
	v_mul_f32_e32 v18, 0x4f800000, v17
	s_nop 0
	v_cndmask_b32_e32 v17, v17, v18, vcc
	v_sqrt_f32_e32 v18, v17
	s_nop 0
	v_add_u32_e32 v19, -1, v18
	v_fma_f32 v81, -v19, v18, v17
	v_cmp_ge_f32_e64 s[0:1], 0, v81
	v_add_u32_e32 v81, 1, v18
	s_nop 0
	v_cndmask_b32_e64 v19, v18, v19, s[0:1]
	v_fma_f32 v18, -v81, v18, v17
	v_cmp_lt_f32_e64 s[0:1], 0, v18
	s_nop 1
	v_cndmask_b32_e64 v18, v19, v81, s[0:1]
	v_mul_f32_e32 v19, 0x37800000, v18
	v_cndmask_b32_e32 v18, v18, v19, vcc
	v_cmp_class_f32_e32 vcc, v17, v97
	s_nop 1
	v_cndmask_b32_e32 v101, v18, v17, vcc
	v_cmp_gt_f32_e32 vcc, s39, v16
	v_mul_f32_e32 v17, 0x4f800000, v16
	s_nop 0
	v_cndmask_b32_e32 v16, v16, v17, vcc
	v_sqrt_f32_e32 v17, v16
	s_nop 0
	v_add_u32_e32 v18, -1, v17
	v_fma_f32 v19, -v18, v17, v16
	v_cmp_ge_f32_e64 s[0:1], 0, v19
	v_add_u32_e32 v19, 1, v17
	s_nop 0
	v_cndmask_b32_e64 v18, v17, v18, s[0:1]
	v_fma_f32 v17, -v19, v17, v16
	v_cmp_lt_f32_e64 s[0:1], 0, v17
	s_nop 1
	v_cndmask_b32_e64 v17, v18, v19, s[0:1]
	v_mul_f32_e32 v18, 0x37800000, v17
	v_cndmask_b32_e32 v17, v17, v18, vcc
	v_cmp_class_f32_e32 vcc, v16, v97
	s_nop 1
	v_cndmask_b32_e32 v100, v17, v16, vcc
	v_pk_add_f32 v[16:17], v[100:101], v[98:99] op_sel_hi:[1,0] neg_lo:[0,1] neg_hi:[0,1]
	v_pk_fma_f32 v[18:19], v[96:97], v[100:101], 1.0 op_sel_hi:[0,1,0] neg_lo:[1,0,0] neg_hi:[1,0,0]
	v_cmp_gt_f32_e32 vcc, 0, v16
	v_cmp_gt_f32_e64 s[0:1], 0, v17
	v_cmp_lt_f32_e64 s[12:13], v16, v59
	v_cndmask_b32_e32 v100, 0, v113, vcc
	v_cndmask_b32_e64 v101, 0, v113, s[0:1]
	v_pk_fma_f32 v[10:11], v[18:19], v[100:101], v[10:11]
	v_pk_fma_f32 v[18:19], v[58:59], v[16:17], 1.0 op_sel_hi:[0,1,0] neg_lo:[1,0,0] neg_hi:[1,0,0]
	v_cmp_lt_f32_e64 s[16:17], v17, v59
	v_cndmask_b32_e64 v19, v19, 1.0, s[0:1]
	v_cndmask_b32_e64 v18, v18, 1.0, vcc
	v_cndmask_b32_e64 v101, 0, 1.0, s[16:17]
	v_cndmask_b32_e64 v100, 0, 1.0, s[12:13]
	v_pk_mul_f32 v[18:19], v[100:101], v[18:19]
	v_cmp_lt_f32_e64 s[12:13], v17, v99
	v_pk_mul_f32 v[18:19], v[94:95], v[18:19] op_sel_hi:[0,1]
	v_cmp_lt_f32_e64 s[16:17], v16, v99
	v_cndmask_b32_e64 v19, v19, -|v19|, s[34:35]
	v_cndmask_b32_e64 v18, v18, -|v18|, s[34:35]
	s_and_b64 s[16:17], s[10:11], s[16:17]
	s_and_b64 s[12:13], s[10:11], s[12:13]
	v_pk_fma_f32 v[10:11], v[18:19], s[28:29], v[10:11] op_sel_hi:[1,0,1]
	v_pk_fma_f32 v[18:19], v[68:69], v[16:17], 1.0 op_sel_hi:[0,1,0] neg_lo:[1,0,0] neg_hi:[1,0,0]
	v_cndmask_b32_e64 v17, 0, 1.0, s[12:13]
	v_cndmask_b32_e64 v16, 0, 1.0, s[16:17]
	v_pk_mul_f32 v[16:17], v[48:49], v[16:17] op_sel_hi:[0,1]
	v_cndmask_b32_e64 v19, v19, 1.0, s[0:1]
	v_cndmask_b32_e64 v18, v18, 1.0, vcc
	v_pk_fma_f32 v[10:11], v[18:19], v[16:17], v[10:11]
	scratch_load_dwordx2 v[16:17], off, off offset:3972 ; 8-byte Folded Reload
	scratch_load_dwordx2 v[18:19], off, off offset:3980 ; 8-byte Folded Reload
	v_pk_add_f32 v[100:101], v[32:33], v[80:81] op_sel_hi:[1,0] neg_lo:[0,1] neg_hi:[0,1]
	s_waitcnt vmcnt(1)
	v_pk_add_f32 v[16:17], v[16:17], v[78:79] op_sel_hi:[1,0] neg_lo:[0,1] neg_hi:[0,1]
	s_waitcnt vmcnt(0)
	v_pk_add_f32 v[18:19], v[18:19], v[78:79] op_sel:[0,1] neg_lo:[0,1] neg_hi:[0,1]
	s_nop 0
	v_pk_mul_f32 v[18:19], v[18:19], v[18:19]
	s_nop 0
	v_pk_fma_f32 v[16:17], v[16:17], v[16:17], v[18:19]
	s_nop 0
	v_pk_fma_f32 v[16:17], v[100:101], v[100:101], v[16:17]
	s_nop 0
	v_cmp_gt_f32_e32 vcc, s39, v17
	v_mul_f32_e32 v18, 0x4f800000, v17
	s_nop 0
	v_cndmask_b32_e32 v17, v17, v18, vcc
	v_sqrt_f32_e32 v18, v17
	s_nop 0
	v_add_u32_e32 v19, -1, v18
	v_fma_f32 v81, -v19, v18, v17
	v_cmp_ge_f32_e64 s[0:1], 0, v81
	v_add_u32_e32 v81, 1, v18
	s_nop 0
	v_cndmask_b32_e64 v19, v18, v19, s[0:1]
	v_fma_f32 v18, -v81, v18, v17
	v_cmp_lt_f32_e64 s[0:1], 0, v18
	s_nop 1
	v_cndmask_b32_e64 v18, v19, v81, s[0:1]
	v_mul_f32_e32 v19, 0x37800000, v18
	v_cndmask_b32_e32 v18, v18, v19, vcc
	v_cmp_class_f32_e32 vcc, v17, v97
	s_nop 1
	v_cndmask_b32_e32 v17, v18, v17, vcc
	v_cmp_gt_f32_e32 vcc, s39, v16
	v_mul_f32_e32 v18, 0x4f800000, v16
	s_nop 0
	v_cndmask_b32_e32 v16, v16, v18, vcc
	v_sqrt_f32_e32 v18, v16
	s_nop 0
	v_add_u32_e32 v19, -1, v18
	v_fma_f32 v81, -v19, v18, v16
	v_cmp_ge_f32_e64 s[0:1], 0, v81
	v_add_u32_e32 v81, 1, v18
	s_nop 0
	v_cndmask_b32_e64 v19, v18, v19, s[0:1]
	v_fma_f32 v18, -v81, v18, v16
	v_cmp_lt_f32_e64 s[0:1], 0, v18
	s_nop 1
	v_cndmask_b32_e64 v18, v19, v81, s[0:1]
	v_mul_f32_e32 v19, 0x37800000, v18
	v_cndmask_b32_e32 v18, v18, v19, vcc
	v_cmp_class_f32_e32 vcc, v16, v97
	s_nop 1
	v_cndmask_b32_e32 v16, v18, v16, vcc
	v_pk_add_f32 v[18:19], v[16:17], v[98:99] op_sel_hi:[1,0] neg_lo:[0,1] neg_hi:[0,1]
	v_pk_fma_f32 v[16:17], v[96:97], v[16:17], 1.0 op_sel_hi:[0,1,0] neg_lo:[1,0,0] neg_hi:[1,0,0]
	v_cmp_gt_f32_e32 vcc, 0, v18
	v_cmp_gt_f32_e64 s[0:1], 0, v19
	v_cmp_lt_f32_e64 s[12:13], v18, v59
	v_cndmask_b32_e32 v100, 0, v113, vcc
	v_cndmask_b32_e64 v101, 0, v113, s[0:1]
	v_pk_fma_f32 v[16:17], v[16:17], v[100:101], v[122:123]
	v_pk_fma_f32 v[100:101], v[58:59], v[18:19], 1.0 op_sel_hi:[0,1,0] neg_lo:[1,0,0] neg_hi:[1,0,0]
	v_cmp_lt_f32_e64 s[16:17], v19, v59
	v_cndmask_b32_e64 v101, v101, 1.0, s[0:1]
	v_cndmask_b32_e64 v100, v100, 1.0, vcc
	v_cndmask_b32_e64 v123, 0, 1.0, s[16:17]
	v_cndmask_b32_e64 v122, 0, 1.0, s[12:13]
	v_pk_mul_f32 v[100:101], v[122:123], v[100:101]
	v_cmp_lt_f32_e64 s[12:13], v19, v99
	v_pk_mul_f32 v[100:101], v[94:95], v[100:101] op_sel_hi:[0,1]
	v_cmp_lt_f32_e64 s[16:17], v18, v99
	v_cndmask_b32_e64 v101, v101, -|v101|, s[34:35]
	v_cndmask_b32_e64 v100, v100, -|v100|, s[34:35]
	s_and_b64 s[16:17], s[10:11], s[16:17]
	s_and_b64 s[12:13], s[10:11], s[12:13]
	v_pk_fma_f32 v[16:17], v[100:101], s[28:29], v[16:17] op_sel_hi:[1,0,1]
	v_pk_fma_f32 v[100:101], v[68:69], v[18:19], 1.0 op_sel_hi:[0,1,0] neg_lo:[1,0,0] neg_hi:[1,0,0]
	v_cndmask_b32_e64 v19, 0, 1.0, s[12:13]
	v_cndmask_b32_e64 v18, 0, 1.0, s[16:17]
	v_pk_mul_f32 v[18:19], v[48:49], v[18:19] op_sel_hi:[0,1]
	v_cndmask_b32_e64 v101, v101, 1.0, s[0:1]
	v_cndmask_b32_e64 v100, v100, 1.0, vcc
	v_pk_fma_f32 v[122:123], v[100:101], v[18:19], v[16:17]
	scratch_load_dwordx2 v[16:17], off, off offset:3992 ; 8-byte Folded Reload
	v_pk_add_f32 v[18:19], v[34:35], v[80:81] op_sel_hi:[1,0] neg_lo:[0,1] neg_hi:[0,1]
	s_waitcnt vmcnt(0)
	v_pk_add_f32 v[100:101], v[16:17], v[78:79] op_sel_hi:[1,0] neg_lo:[0,1] neg_hi:[0,1]
	scratch_load_dwordx2 v[16:17], off, off offset:4000 ; 8-byte Folded Reload
	s_waitcnt vmcnt(0)
	v_pk_add_f32 v[16:17], v[16:17], v[78:79] op_sel:[0,1] neg_lo:[0,1] neg_hi:[0,1]
	s_nop 0
	v_pk_mul_f32 v[16:17], v[16:17], v[16:17]
	s_nop 0
	v_pk_fma_f32 v[16:17], v[100:101], v[100:101], v[16:17]
	s_nop 0
	v_pk_fma_f32 v[16:17], v[18:19], v[18:19], v[16:17]
	s_nop 0
	v_cmp_gt_f32_e32 vcc, s39, v17
	v_mul_f32_e32 v18, 0x4f800000, v17
	s_nop 0
	v_cndmask_b32_e32 v17, v17, v18, vcc
	v_sqrt_f32_e32 v18, v17
	s_nop 0
	v_add_u32_e32 v19, -1, v18
	v_fma_f32 v81, -v19, v18, v17
	v_cmp_ge_f32_e64 s[0:1], 0, v81
	v_add_u32_e32 v81, 1, v18
	s_nop 0
	v_cndmask_b32_e64 v19, v18, v19, s[0:1]
	v_fma_f32 v18, -v81, v18, v17
	v_cmp_lt_f32_e64 s[0:1], 0, v18
	s_nop 1
	v_cndmask_b32_e64 v18, v19, v81, s[0:1]
	v_mul_f32_e32 v19, 0x37800000, v18
	v_cndmask_b32_e32 v18, v18, v19, vcc
	v_cmp_class_f32_e32 vcc, v17, v97
	s_nop 1
	v_cndmask_b32_e32 v101, v18, v17, vcc
	v_cmp_gt_f32_e32 vcc, s39, v16
	v_mul_f32_e32 v17, 0x4f800000, v16
	s_nop 0
	v_cndmask_b32_e32 v16, v16, v17, vcc
	v_sqrt_f32_e32 v17, v16
	s_nop 0
	v_add_u32_e32 v18, -1, v17
	v_fma_f32 v19, -v18, v17, v16
	v_cmp_ge_f32_e64 s[0:1], 0, v19
	v_add_u32_e32 v19, 1, v17
	s_nop 0
	v_cndmask_b32_e64 v18, v17, v18, s[0:1]
	v_fma_f32 v17, -v19, v17, v16
	v_cmp_lt_f32_e64 s[0:1], 0, v17
	s_nop 1
	v_cndmask_b32_e64 v17, v18, v19, s[0:1]
	v_mul_f32_e32 v18, 0x37800000, v17
	v_cndmask_b32_e32 v17, v17, v18, vcc
	v_cmp_class_f32_e32 vcc, v16, v97
	s_nop 1
	v_cndmask_b32_e32 v100, v17, v16, vcc
	v_pk_add_f32 v[16:17], v[100:101], v[98:99] op_sel_hi:[1,0] neg_lo:[0,1] neg_hi:[0,1]
	v_pk_fma_f32 v[18:19], v[96:97], v[100:101], 1.0 op_sel_hi:[0,1,0] neg_lo:[1,0,0] neg_hi:[1,0,0]
	v_cmp_gt_f32_e32 vcc, 0, v16
	v_cmp_gt_f32_e64 s[0:1], 0, v17
	v_cmp_lt_f32_e64 s[12:13], v16, v59
	v_cndmask_b32_e32 v100, 0, v113, vcc
	v_cndmask_b32_e64 v101, 0, v113, s[0:1]
	v_pk_fma_f32 v[18:19], v[18:19], v[100:101], v[124:125]
	v_pk_fma_f32 v[100:101], v[58:59], v[16:17], 1.0 op_sel_hi:[0,1,0] neg_lo:[1,0,0] neg_hi:[1,0,0]
	v_cmp_lt_f32_e64 s[16:17], v17, v59
	v_cndmask_b32_e64 v101, v101, 1.0, s[0:1]
	v_cndmask_b32_e64 v100, v100, 1.0, vcc
	v_cndmask_b32_e64 v125, 0, 1.0, s[16:17]
	v_cndmask_b32_e64 v124, 0, 1.0, s[12:13]
	v_pk_mul_f32 v[100:101], v[124:125], v[100:101]
	v_cmp_lt_f32_e64 s[12:13], v17, v99
	v_pk_mul_f32 v[100:101], v[94:95], v[100:101] op_sel_hi:[0,1]
	v_cmp_lt_f32_e64 s[16:17], v16, v99
	v_cndmask_b32_e64 v101, v101, -|v101|, s[34:35]
	v_cndmask_b32_e64 v100, v100, -|v100|, s[34:35]
	s_and_b64 s[16:17], s[10:11], s[16:17]
	s_and_b64 s[12:13], s[10:11], s[12:13]
	v_pk_fma_f32 v[18:19], v[100:101], s[28:29], v[18:19] op_sel_hi:[1,0,1]
	v_pk_fma_f32 v[100:101], v[68:69], v[16:17], 1.0 op_sel_hi:[0,1,0] neg_lo:[1,0,0] neg_hi:[1,0,0]
	v_cndmask_b32_e64 v17, 0, 1.0, s[12:13]
	v_cndmask_b32_e64 v16, 0, 1.0, s[16:17]
	v_pk_mul_f32 v[16:17], v[48:49], v[16:17] op_sel_hi:[0,1]
	v_cndmask_b32_e64 v101, v101, 1.0, s[0:1]
	v_cndmask_b32_e64 v100, v100, 1.0, vcc
	v_pk_fma_f32 v[124:125], v[100:101], v[16:17], v[18:19]
	v_pk_add_f32 v[18:19], v[12:13], v[78:79] op_sel:[0,1] neg_lo:[0,1] neg_hi:[0,1]
	v_pk_add_f32 v[16:17], v[116:117], v[78:79] op_sel_hi:[1,0] neg_lo:[0,1] neg_hi:[0,1]
	v_pk_mul_f32 v[18:19], v[18:19], v[18:19]
	v_pk_add_f32 v[100:101], v[44:45], v[80:81] op_sel_hi:[1,0] neg_lo:[0,1] neg_hi:[0,1]
	v_pk_fma_f32 v[16:17], v[16:17], v[16:17], v[18:19]
	s_nop 0
	v_pk_fma_f32 v[16:17], v[100:101], v[100:101], v[16:17]
	s_nop 0
	v_cmp_gt_f32_e32 vcc, s39, v17
	v_mul_f32_e32 v18, 0x4f800000, v17
	s_nop 0
	v_cndmask_b32_e32 v17, v17, v18, vcc
	v_sqrt_f32_e32 v18, v17
	s_nop 0
	v_add_u32_e32 v19, -1, v18
	v_fma_f32 v81, -v19, v18, v17
	v_cmp_ge_f32_e64 s[0:1], 0, v81
	v_add_u32_e32 v81, 1, v18
	s_nop 0
	v_cndmask_b32_e64 v19, v18, v19, s[0:1]
	v_fma_f32 v18, -v81, v18, v17
	v_cmp_lt_f32_e64 s[0:1], 0, v18
	s_nop 1
	v_cndmask_b32_e64 v18, v19, v81, s[0:1]
	v_mul_f32_e32 v19, 0x37800000, v18
	v_cndmask_b32_e32 v18, v18, v19, vcc
	v_cmp_class_f32_e32 vcc, v17, v97
	s_nop 1
	v_cndmask_b32_e32 v17, v18, v17, vcc
	v_cmp_gt_f32_e32 vcc, s39, v16
	v_mul_f32_e32 v18, 0x4f800000, v16
	s_nop 0
	v_cndmask_b32_e32 v16, v16, v18, vcc
	v_sqrt_f32_e32 v18, v16
	s_nop 0
	v_add_u32_e32 v19, -1, v18
	v_fma_f32 v81, -v19, v18, v16
	v_cmp_ge_f32_e64 s[0:1], 0, v81
	v_add_u32_e32 v81, 1, v18
	s_nop 0
	v_cndmask_b32_e64 v19, v18, v19, s[0:1]
	v_fma_f32 v18, -v81, v18, v16
	v_cmp_lt_f32_e64 s[0:1], 0, v18
	s_nop 1
	v_cndmask_b32_e64 v18, v19, v81, s[0:1]
	v_mul_f32_e32 v19, 0x37800000, v18
	v_cndmask_b32_e32 v18, v18, v19, vcc
	v_cmp_class_f32_e32 vcc, v16, v97
	s_nop 1
	v_cndmask_b32_e32 v16, v18, v16, vcc
	v_pk_add_f32 v[18:19], v[16:17], v[98:99] op_sel_hi:[1,0] neg_lo:[0,1] neg_hi:[0,1]
	v_pk_fma_f32 v[16:17], v[96:97], v[16:17], 1.0 op_sel_hi:[0,1,0] neg_lo:[1,0,0] neg_hi:[1,0,0]
	v_cmp_gt_f32_e32 vcc, 0, v18
	v_cmp_gt_f32_e64 s[0:1], 0, v19
	v_cmp_lt_f32_e64 s[12:13], v18, v59
	v_cndmask_b32_e32 v100, 0, v113, vcc
	v_cndmask_b32_e64 v101, 0, v113, s[0:1]
	v_pk_fma_f32 v[16:17], v[16:17], v[100:101], v[118:119]
	v_pk_fma_f32 v[100:101], v[58:59], v[18:19], 1.0 op_sel_hi:[0,1,0] neg_lo:[1,0,0] neg_hi:[1,0,0]
	v_cmp_lt_f32_e64 s[16:17], v19, v59
	v_cndmask_b32_e64 v101, v101, 1.0, s[0:1]
	v_cndmask_b32_e64 v100, v100, 1.0, vcc
	v_cndmask_b32_e64 v119, 0, 1.0, s[16:17]
	v_cndmask_b32_e64 v118, 0, 1.0, s[12:13]
	v_pk_mul_f32 v[100:101], v[118:119], v[100:101]
	v_cmp_lt_f32_e64 s[12:13], v19, v99
	v_pk_mul_f32 v[100:101], v[94:95], v[100:101] op_sel_hi:[0,1]
	v_cmp_lt_f32_e64 s[16:17], v18, v99
	v_cndmask_b32_e64 v101, v101, -|v101|, s[34:35]
	v_cndmask_b32_e64 v100, v100, -|v100|, s[34:35]
	s_and_b64 s[16:17], s[10:11], s[16:17]
	s_and_b64 s[12:13], s[10:11], s[12:13]
	v_pk_fma_f32 v[16:17], v[100:101], s[28:29], v[16:17] op_sel_hi:[1,0,1]
	v_pk_fma_f32 v[100:101], v[68:69], v[18:19], 1.0 op_sel_hi:[0,1,0] neg_lo:[1,0,0] neg_hi:[1,0,0]
	v_cndmask_b32_e64 v19, 0, 1.0, s[12:13]
	v_cndmask_b32_e64 v18, 0, 1.0, s[16:17]
	v_pk_mul_f32 v[18:19], v[48:49], v[18:19] op_sel_hi:[0,1]
	v_cndmask_b32_e64 v101, v101, 1.0, s[0:1]
	v_cndmask_b32_e64 v100, v100, 1.0, vcc
	v_pk_fma_f32 v[118:119], v[100:101], v[18:19], v[16:17]
	v_pk_add_f32 v[16:17], v[40:41], v[78:79] op_sel:[0,1] neg_lo:[0,1] neg_hi:[0,1]
	v_pk_add_f32 v[100:101], v[14:15], v[78:79] op_sel_hi:[1,0] neg_lo:[0,1] neg_hi:[0,1]
	v_pk_mul_f32 v[16:17], v[16:17], v[16:17]
	v_pk_add_f32 v[18:19], v[46:47], v[80:81] op_sel_hi:[1,0] neg_lo:[0,1] neg_hi:[0,1]
	v_pk_fma_f32 v[16:17], v[100:101], v[100:101], v[16:17]
	s_nop 0
	v_pk_fma_f32 v[16:17], v[18:19], v[18:19], v[16:17]
	s_nop 0
	v_cmp_gt_f32_e32 vcc, s39, v17
	v_mul_f32_e32 v18, 0x4f800000, v17
	s_nop 0
	v_cndmask_b32_e32 v17, v17, v18, vcc
	v_sqrt_f32_e32 v18, v17
	s_nop 0
	v_add_u32_e32 v19, -1, v18
	v_fma_f32 v81, -v19, v18, v17
	v_cmp_ge_f32_e64 s[0:1], 0, v81
	v_add_u32_e32 v81, 1, v18
	s_nop 0
	v_cndmask_b32_e64 v19, v18, v19, s[0:1]
	v_fma_f32 v18, -v81, v18, v17
	v_cmp_lt_f32_e64 s[0:1], 0, v18
	s_nop 1
	v_cndmask_b32_e64 v18, v19, v81, s[0:1]
	v_mul_f32_e32 v19, 0x37800000, v18
	v_cndmask_b32_e32 v18, v18, v19, vcc
	v_cmp_class_f32_e32 vcc, v17, v97
	s_nop 1
	v_cndmask_b32_e32 v101, v18, v17, vcc
	v_cmp_gt_f32_e32 vcc, s39, v16
	v_mul_f32_e32 v17, 0x4f800000, v16
	s_nop 0
	v_cndmask_b32_e32 v16, v16, v17, vcc
	v_sqrt_f32_e32 v17, v16
	s_nop 0
	v_add_u32_e32 v18, -1, v17
	v_fma_f32 v19, -v18, v17, v16
	v_cmp_ge_f32_e64 s[0:1], 0, v19
	v_add_u32_e32 v19, 1, v17
	s_nop 0
	v_cndmask_b32_e64 v18, v17, v18, s[0:1]
	v_fma_f32 v17, -v19, v17, v16
	v_cmp_lt_f32_e64 s[0:1], 0, v17
	s_nop 1
	v_cndmask_b32_e64 v17, v18, v19, s[0:1]
	v_mul_f32_e32 v18, 0x37800000, v17
	v_cndmask_b32_e32 v17, v17, v18, vcc
	v_cmp_class_f32_e32 vcc, v16, v97
	s_nop 1
	v_cndmask_b32_e32 v100, v17, v16, vcc
	v_pk_add_f32 v[16:17], v[100:101], v[98:99] op_sel_hi:[1,0] neg_lo:[0,1] neg_hi:[0,1]
	v_pk_fma_f32 v[18:19], v[96:97], v[100:101], 1.0 op_sel_hi:[0,1,0] neg_lo:[1,0,0] neg_hi:[1,0,0]
	v_cmp_gt_f32_e32 vcc, 0, v16
	v_cmp_gt_f32_e64 s[0:1], 0, v17
	v_cmp_lt_f32_e64 s[12:13], v16, v59
	v_cndmask_b32_e32 v100, 0, v113, vcc
	v_cndmask_b32_e64 v101, 0, v113, s[0:1]
	v_pk_fma_f32 v[18:19], v[18:19], v[100:101], v[120:121]
	v_pk_fma_f32 v[100:101], v[58:59], v[16:17], 1.0 op_sel_hi:[0,1,0] neg_lo:[1,0,0] neg_hi:[1,0,0]
	v_cmp_lt_f32_e64 s[16:17], v17, v59
	v_cndmask_b32_e64 v101, v101, 1.0, s[0:1]
	v_cndmask_b32_e64 v100, v100, 1.0, vcc
	v_cndmask_b32_e64 v121, 0, 1.0, s[16:17]
	v_cndmask_b32_e64 v120, 0, 1.0, s[12:13]
	v_pk_mul_f32 v[100:101], v[120:121], v[100:101]
	v_cmp_lt_f32_e64 s[12:13], v17, v99
	v_pk_mul_f32 v[100:101], v[94:95], v[100:101] op_sel_hi:[0,1]
	v_cmp_lt_f32_e64 s[16:17], v16, v99
	v_cndmask_b32_e64 v101, v101, -|v101|, s[34:35]
	v_cndmask_b32_e64 v100, v100, -|v100|, s[34:35]
	s_and_b64 s[16:17], s[10:11], s[16:17]
	s_and_b64 s[12:13], s[10:11], s[12:13]
	v_pk_fma_f32 v[18:19], v[100:101], s[28:29], v[18:19] op_sel_hi:[1,0,1]
	v_pk_fma_f32 v[100:101], v[68:69], v[16:17], 1.0 op_sel_hi:[0,1,0] neg_lo:[1,0,0] neg_hi:[1,0,0]
	v_cndmask_b32_e64 v17, 0, 1.0, s[12:13]
	v_cndmask_b32_e64 v16, 0, 1.0, s[16:17]
	v_pk_mul_f32 v[16:17], v[48:49], v[16:17] op_sel_hi:[0,1]
	v_cndmask_b32_e64 v101, v101, 1.0, s[0:1]
	v_cndmask_b32_e64 v100, v100, 1.0, vcc
	v_pk_fma_f32 v[120:121], v[100:101], v[16:17], v[18:19]
	v_pk_add_f32 v[18:19], v[60:61], v[78:79] op_sel:[0,1] neg_lo:[0,1] neg_hi:[0,1]
	v_pk_add_f32 v[16:17], v[42:43], v[78:79] op_sel_hi:[1,0] neg_lo:[0,1] neg_hi:[0,1]
	v_pk_mul_f32 v[18:19], v[18:19], v[18:19]
	v_pk_add_f32 v[100:101], v[56:57], v[80:81] op_sel_hi:[1,0] neg_lo:[0,1] neg_hi:[0,1]
	v_pk_fma_f32 v[16:17], v[16:17], v[16:17], v[18:19]
	s_nop 0
	v_pk_fma_f32 v[16:17], v[100:101], v[100:101], v[16:17]
	s_nop 0
	v_cmp_gt_f32_e32 vcc, s39, v17
	v_mul_f32_e32 v18, 0x4f800000, v17
	s_nop 0
	v_cndmask_b32_e32 v17, v17, v18, vcc
	v_sqrt_f32_e32 v18, v17
	s_nop 0
	v_add_u32_e32 v19, -1, v18
	v_fma_f32 v81, -v19, v18, v17
	v_cmp_ge_f32_e64 s[0:1], 0, v81
	v_add_u32_e32 v81, 1, v18
	s_nop 0
	v_cndmask_b32_e64 v19, v18, v19, s[0:1]
	v_fma_f32 v18, -v81, v18, v17
	v_cmp_lt_f32_e64 s[0:1], 0, v18
	s_nop 1
	v_cndmask_b32_e64 v18, v19, v81, s[0:1]
	v_mul_f32_e32 v19, 0x37800000, v18
	v_cndmask_b32_e32 v18, v18, v19, vcc
	v_cmp_class_f32_e32 vcc, v17, v97
	s_nop 1
	v_cndmask_b32_e32 v17, v18, v17, vcc
	v_cmp_gt_f32_e32 vcc, s39, v16
	v_mul_f32_e32 v18, 0x4f800000, v16
	s_nop 0
	v_cndmask_b32_e32 v16, v16, v18, vcc
	v_sqrt_f32_e32 v18, v16
	s_nop 0
	v_add_u32_e32 v19, -1, v18
	v_fma_f32 v81, -v19, v18, v16
	v_cmp_ge_f32_e64 s[0:1], 0, v81
	v_add_u32_e32 v81, 1, v18
	s_nop 0
	v_cndmask_b32_e64 v19, v18, v19, s[0:1]
	v_fma_f32 v18, -v81, v18, v16
	v_cmp_lt_f32_e64 s[0:1], 0, v18
	s_nop 1
	v_cndmask_b32_e64 v18, v19, v81, s[0:1]
	v_mul_f32_e32 v19, 0x37800000, v18
	v_cndmask_b32_e32 v18, v18, v19, vcc
	v_cmp_class_f32_e32 vcc, v16, v97
	s_nop 1
	v_cndmask_b32_e32 v16, v18, v16, vcc
	v_pk_add_f32 v[18:19], v[16:17], v[98:99] op_sel_hi:[1,0] neg_lo:[0,1] neg_hi:[0,1]
	v_pk_fma_f32 v[16:17], v[96:97], v[16:17], 1.0 op_sel_hi:[0,1,0] neg_lo:[1,0,0] neg_hi:[1,0,0]
	v_cmp_gt_f32_e32 vcc, 0, v18
	v_cmp_gt_f32_e64 s[0:1], 0, v19
	v_cmp_lt_f32_e64 s[12:13], v18, v59
	v_cndmask_b32_e32 v100, 0, v113, vcc
	v_cndmask_b32_e64 v101, 0, v113, s[0:1]
	v_pk_fma_f32 v[16:17], v[16:17], v[100:101], v[82:83]
	v_pk_fma_f32 v[82:83], v[58:59], v[18:19], 1.0 op_sel_hi:[0,1,0] neg_lo:[1,0,0] neg_hi:[1,0,0]
	v_cmp_lt_f32_e64 s[16:17], v19, v59
	v_cndmask_b32_e64 v83, v83, 1.0, s[0:1]
	v_cndmask_b32_e64 v82, v82, 1.0, vcc
	v_cndmask_b32_e64 v101, 0, 1.0, s[16:17]
	v_cndmask_b32_e64 v100, 0, 1.0, s[12:13]
	v_pk_mul_f32 v[82:83], v[100:101], v[82:83]
	v_cmp_lt_f32_e64 s[12:13], v19, v99
	v_pk_mul_f32 v[82:83], v[94:95], v[82:83] op_sel_hi:[0,1]
	v_cmp_lt_f32_e64 s[16:17], v18, v99
	v_cndmask_b32_e64 v83, v83, -|v83|, s[34:35]
	v_cndmask_b32_e64 v82, v82, -|v82|, s[34:35]
	s_and_b64 s[16:17], s[10:11], s[16:17]
	s_and_b64 s[12:13], s[10:11], s[12:13]
	v_pk_fma_f32 v[16:17], v[82:83], s[28:29], v[16:17] op_sel_hi:[1,0,1]
	v_pk_fma_f32 v[82:83], v[68:69], v[18:19], 1.0 op_sel_hi:[0,1,0] neg_lo:[1,0,0] neg_hi:[1,0,0]
	v_cndmask_b32_e64 v19, 0, 1.0, s[12:13]
	v_cndmask_b32_e64 v18, 0, 1.0, s[16:17]
	v_pk_mul_f32 v[18:19], v[48:49], v[18:19] op_sel_hi:[0,1]
	v_cndmask_b32_e64 v83, v83, 1.0, s[0:1]
	v_cndmask_b32_e64 v82, v82, 1.0, vcc
	v_pk_fma_f32 v[82:83], v[82:83], v[18:19], v[16:17]
	scratch_load_dwordx2 v[16:17], off, off offset:3344 ; 8-byte Folded Reload
	scratch_load_dwordx2 v[18:19], off, off offset:3692 ; 8-byte Folded Reload
	s_waitcnt vmcnt(1)
	v_pk_add_f32 v[100:101], v[16:17], v[78:79] op_sel_hi:[1,0] neg_lo:[0,1] neg_hi:[0,1]
	scratch_load_dwordx2 v[16:17], off, off offset:3352 ; 8-byte Folded Reload
	s_waitcnt vmcnt(1)
	v_pk_add_f32 v[18:19], v[18:19], v[80:81] op_sel_hi:[1,0] neg_lo:[0,1] neg_hi:[0,1]
	s_waitcnt vmcnt(0)
	v_pk_add_f32 v[16:17], v[16:17], v[78:79] op_sel:[0,1] neg_lo:[0,1] neg_hi:[0,1]
	s_nop 0
	v_pk_mul_f32 v[16:17], v[16:17], v[16:17]
	s_nop 0
	v_pk_fma_f32 v[16:17], v[100:101], v[100:101], v[16:17]
	s_nop 0
	v_pk_fma_f32 v[16:17], v[18:19], v[18:19], v[16:17]
	s_nop 0
	v_cmp_gt_f32_e32 vcc, s39, v17
	v_mul_f32_e32 v18, 0x4f800000, v17
	s_nop 0
	v_cndmask_b32_e32 v17, v17, v18, vcc
	v_sqrt_f32_e32 v18, v17
	s_nop 0
	v_add_u32_e32 v19, -1, v18
	v_fma_f32 v81, -v19, v18, v17
	v_cmp_ge_f32_e64 s[0:1], 0, v81
	v_add_u32_e32 v81, 1, v18
	s_nop 0
	v_cndmask_b32_e64 v19, v18, v19, s[0:1]
	v_fma_f32 v18, -v81, v18, v17
	v_cmp_lt_f32_e64 s[0:1], 0, v18
	s_nop 1
	v_cndmask_b32_e64 v18, v19, v81, s[0:1]
	v_mul_f32_e32 v19, 0x37800000, v18
	v_cndmask_b32_e32 v18, v18, v19, vcc
	v_cmp_class_f32_e32 vcc, v17, v97
	s_nop 1
	v_cndmask_b32_e32 v101, v18, v17, vcc
	v_cmp_gt_f32_e32 vcc, s39, v16
	v_mul_f32_e32 v17, 0x4f800000, v16
	s_nop 0
	v_cndmask_b32_e32 v16, v16, v17, vcc
	v_sqrt_f32_e32 v17, v16
	s_nop 0
	v_add_u32_e32 v18, -1, v17
	v_fma_f32 v19, -v18, v17, v16
	v_cmp_ge_f32_e64 s[0:1], 0, v19
	v_add_u32_e32 v19, 1, v17
	s_nop 0
	v_cndmask_b32_e64 v18, v17, v18, s[0:1]
	v_fma_f32 v17, -v19, v17, v16
	v_cmp_lt_f32_e64 s[0:1], 0, v17
	s_nop 1
	v_cndmask_b32_e64 v17, v18, v19, s[0:1]
	v_mul_f32_e32 v18, 0x37800000, v17
	v_cndmask_b32_e32 v17, v17, v18, vcc
	v_cmp_class_f32_e32 vcc, v16, v97
	s_nop 1
	v_cndmask_b32_e32 v100, v17, v16, vcc
	v_pk_add_f32 v[16:17], v[100:101], v[98:99] op_sel_hi:[1,0] neg_lo:[0,1] neg_hi:[0,1]
	v_pk_fma_f32 v[18:19], v[96:97], v[100:101], 1.0 op_sel_hi:[0,1,0] neg_lo:[1,0,0] neg_hi:[1,0,0]
	v_cmp_gt_f32_e32 vcc, 0, v16
	v_cmp_gt_f32_e64 s[0:1], 0, v17
	v_cmp_lt_f32_e64 s[12:13], v16, v59
	v_cndmask_b32_e32 v100, 0, v113, vcc
	v_cndmask_b32_e64 v101, 0, v113, s[0:1]
	v_pk_fma_f32 v[18:19], v[18:19], v[100:101], v[84:85]
	v_pk_fma_f32 v[84:85], v[58:59], v[16:17], 1.0 op_sel_hi:[0,1,0] neg_lo:[1,0,0] neg_hi:[1,0,0]
	v_cmp_lt_f32_e64 s[16:17], v17, v59
	v_cndmask_b32_e64 v85, v85, 1.0, s[0:1]
	v_cndmask_b32_e64 v84, v84, 1.0, vcc
	v_cndmask_b32_e64 v101, 0, 1.0, s[16:17]
	v_cndmask_b32_e64 v100, 0, 1.0, s[12:13]
	v_pk_mul_f32 v[84:85], v[100:101], v[84:85]
	v_cmp_lt_f32_e64 s[12:13], v17, v99
	v_pk_mul_f32 v[84:85], v[94:95], v[84:85] op_sel_hi:[0,1]
	v_cmp_lt_f32_e64 s[16:17], v16, v99
	v_cndmask_b32_e64 v85, v85, -|v85|, s[34:35]
	v_cndmask_b32_e64 v84, v84, -|v84|, s[34:35]
	s_and_b64 s[16:17], s[10:11], s[16:17]
	s_and_b64 s[12:13], s[10:11], s[12:13]
	v_pk_fma_f32 v[18:19], v[84:85], s[28:29], v[18:19] op_sel_hi:[1,0,1]
	v_pk_fma_f32 v[84:85], v[68:69], v[16:17], 1.0 op_sel_hi:[0,1,0] neg_lo:[1,0,0] neg_hi:[1,0,0]
	v_cndmask_b32_e64 v17, 0, 1.0, s[12:13]
	v_cndmask_b32_e64 v16, 0, 1.0, s[16:17]
	v_pk_mul_f32 v[16:17], v[48:49], v[16:17] op_sel_hi:[0,1]
	v_cndmask_b32_e64 v85, v85, 1.0, s[0:1]
	v_cndmask_b32_e64 v84, v84, 1.0, vcc
	v_pk_fma_f32 v[84:85], v[84:85], v[16:17], v[18:19]
	scratch_load_dwordx2 v[16:17], off, off offset:3360 ; 8-byte Folded Reload
	scratch_load_dwordx2 v[18:19], off, off offset:3368 ; 8-byte Folded Reload
	;; [unrolled: 1-line block ×3, first 2 shown]
	s_waitcnt vmcnt(2)
	v_pk_add_f32 v[16:17], v[16:17], v[78:79] op_sel_hi:[1,0] neg_lo:[0,1] neg_hi:[0,1]
	s_waitcnt vmcnt(1)
	v_pk_add_f32 v[18:19], v[18:19], v[78:79] op_sel:[0,1] neg_lo:[0,1] neg_hi:[0,1]
	s_waitcnt vmcnt(0)
	v_pk_add_f32 v[100:101], v[100:101], v[80:81] op_sel_hi:[1,0] neg_lo:[0,1] neg_hi:[0,1]
	v_pk_mul_f32 v[18:19], v[18:19], v[18:19]
	s_nop 0
	v_pk_fma_f32 v[16:17], v[16:17], v[16:17], v[18:19]
	s_nop 0
	v_pk_fma_f32 v[16:17], v[100:101], v[100:101], v[16:17]
	s_nop 0
	v_cmp_gt_f32_e32 vcc, s39, v17
	v_mul_f32_e32 v18, 0x4f800000, v17
	s_nop 0
	v_cndmask_b32_e32 v17, v17, v18, vcc
	v_sqrt_f32_e32 v18, v17
	s_nop 0
	v_add_u32_e32 v19, -1, v18
	v_fma_f32 v81, -v19, v18, v17
	v_cmp_ge_f32_e64 s[0:1], 0, v81
	v_add_u32_e32 v81, 1, v18
	s_nop 0
	v_cndmask_b32_e64 v19, v18, v19, s[0:1]
	v_fma_f32 v18, -v81, v18, v17
	v_cmp_lt_f32_e64 s[0:1], 0, v18
	s_nop 1
	v_cndmask_b32_e64 v18, v19, v81, s[0:1]
	v_mul_f32_e32 v19, 0x37800000, v18
	v_cndmask_b32_e32 v18, v18, v19, vcc
	v_cmp_class_f32_e32 vcc, v17, v97
	s_nop 1
	v_cndmask_b32_e32 v17, v18, v17, vcc
	v_cmp_gt_f32_e32 vcc, s39, v16
	v_mul_f32_e32 v18, 0x4f800000, v16
	s_nop 0
	v_cndmask_b32_e32 v16, v16, v18, vcc
	v_sqrt_f32_e32 v18, v16
	s_nop 0
	v_add_u32_e32 v19, -1, v18
	v_fma_f32 v81, -v19, v18, v16
	v_cmp_ge_f32_e64 s[0:1], 0, v81
	v_add_u32_e32 v81, 1, v18
	s_nop 0
	v_cndmask_b32_e64 v19, v18, v19, s[0:1]
	v_fma_f32 v18, -v81, v18, v16
	v_cmp_lt_f32_e64 s[0:1], 0, v18
	s_nop 1
	v_cndmask_b32_e64 v18, v19, v81, s[0:1]
	v_mul_f32_e32 v19, 0x37800000, v18
	v_cndmask_b32_e32 v18, v18, v19, vcc
	v_cmp_class_f32_e32 vcc, v16, v97
	s_nop 1
	v_cndmask_b32_e32 v16, v18, v16, vcc
	v_pk_add_f32 v[18:19], v[16:17], v[98:99] op_sel_hi:[1,0] neg_lo:[0,1] neg_hi:[0,1]
	v_pk_fma_f32 v[16:17], v[96:97], v[16:17], 1.0 op_sel_hi:[0,1,0] neg_lo:[1,0,0] neg_hi:[1,0,0]
	v_cmp_gt_f32_e32 vcc, 0, v18
	v_cmp_gt_f32_e64 s[0:1], 0, v19
	v_cmp_lt_f32_e64 s[12:13], v18, v59
	v_cndmask_b32_e32 v100, 0, v113, vcc
	v_cndmask_b32_e64 v101, 0, v113, s[0:1]
	v_pk_fma_f32 v[16:17], v[16:17], v[100:101], v[106:107]
	v_pk_fma_f32 v[100:101], v[58:59], v[18:19], 1.0 op_sel_hi:[0,1,0] neg_lo:[1,0,0] neg_hi:[1,0,0]
	v_cmp_lt_f32_e64 s[16:17], v19, v59
	v_cndmask_b32_e64 v101, v101, 1.0, s[0:1]
	v_cndmask_b32_e64 v100, v100, 1.0, vcc
	v_cndmask_b32_e64 v107, 0, 1.0, s[16:17]
	v_cndmask_b32_e64 v106, 0, 1.0, s[12:13]
	v_pk_mul_f32 v[100:101], v[106:107], v[100:101]
	v_cmp_lt_f32_e64 s[12:13], v19, v99
	v_pk_mul_f32 v[100:101], v[94:95], v[100:101] op_sel_hi:[0,1]
	v_cmp_lt_f32_e64 s[16:17], v18, v99
	v_cndmask_b32_e64 v101, v101, -|v101|, s[34:35]
	v_cndmask_b32_e64 v100, v100, -|v100|, s[34:35]
	s_and_b64 s[16:17], s[10:11], s[16:17]
	s_and_b64 s[12:13], s[10:11], s[12:13]
	v_pk_fma_f32 v[16:17], v[100:101], s[28:29], v[16:17] op_sel_hi:[1,0,1]
	v_pk_fma_f32 v[100:101], v[68:69], v[18:19], 1.0 op_sel_hi:[0,1,0] neg_lo:[1,0,0] neg_hi:[1,0,0]
	v_cndmask_b32_e64 v19, 0, 1.0, s[12:13]
	v_cndmask_b32_e64 v18, 0, 1.0, s[16:17]
	v_pk_mul_f32 v[18:19], v[48:49], v[18:19] op_sel_hi:[0,1]
	v_cndmask_b32_e64 v101, v101, 1.0, s[0:1]
	v_cndmask_b32_e64 v100, v100, 1.0, vcc
	v_pk_fma_f32 v[106:107], v[100:101], v[18:19], v[16:17]
	scratch_load_dwordx2 v[16:17], off, off offset:3376 ; 8-byte Folded Reload
	scratch_load_dwordx2 v[18:19], off, off offset:3708 ; 8-byte Folded Reload
	s_waitcnt vmcnt(1)
	v_pk_add_f32 v[100:101], v[16:17], v[78:79] op_sel_hi:[1,0] neg_lo:[0,1] neg_hi:[0,1]
	scratch_load_dwordx2 v[16:17], off, off offset:3384 ; 8-byte Folded Reload
	s_waitcnt vmcnt(1)
	v_pk_add_f32 v[18:19], v[18:19], v[80:81] op_sel_hi:[1,0] neg_lo:[0,1] neg_hi:[0,1]
	s_waitcnt vmcnt(0)
	v_pk_add_f32 v[16:17], v[16:17], v[78:79] op_sel:[0,1] neg_lo:[0,1] neg_hi:[0,1]
	s_nop 0
	v_pk_mul_f32 v[16:17], v[16:17], v[16:17]
	s_nop 0
	v_pk_fma_f32 v[16:17], v[100:101], v[100:101], v[16:17]
	s_nop 0
	v_pk_fma_f32 v[16:17], v[18:19], v[18:19], v[16:17]
	s_nop 0
	v_cmp_gt_f32_e32 vcc, s39, v17
	v_mul_f32_e32 v18, 0x4f800000, v17
	s_nop 0
	v_cndmask_b32_e32 v17, v17, v18, vcc
	v_sqrt_f32_e32 v18, v17
	s_nop 0
	v_add_u32_e32 v19, -1, v18
	v_fma_f32 v81, -v19, v18, v17
	v_cmp_ge_f32_e64 s[0:1], 0, v81
	v_add_u32_e32 v81, 1, v18
	s_nop 0
	v_cndmask_b32_e64 v19, v18, v19, s[0:1]
	v_fma_f32 v18, -v81, v18, v17
	v_cmp_lt_f32_e64 s[0:1], 0, v18
	s_nop 1
	v_cndmask_b32_e64 v18, v19, v81, s[0:1]
	v_mul_f32_e32 v19, 0x37800000, v18
	v_cndmask_b32_e32 v18, v18, v19, vcc
	v_cmp_class_f32_e32 vcc, v17, v97
	s_nop 1
	v_cndmask_b32_e32 v101, v18, v17, vcc
	v_cmp_gt_f32_e32 vcc, s39, v16
	v_mul_f32_e32 v17, 0x4f800000, v16
	s_nop 0
	v_cndmask_b32_e32 v16, v16, v17, vcc
	v_sqrt_f32_e32 v17, v16
	s_nop 0
	v_add_u32_e32 v18, -1, v17
	v_fma_f32 v19, -v18, v17, v16
	v_cmp_ge_f32_e64 s[0:1], 0, v19
	v_add_u32_e32 v19, 1, v17
	s_nop 0
	v_cndmask_b32_e64 v18, v17, v18, s[0:1]
	v_fma_f32 v17, -v19, v17, v16
	v_cmp_lt_f32_e64 s[0:1], 0, v17
	s_nop 1
	v_cndmask_b32_e64 v17, v18, v19, s[0:1]
	v_mul_f32_e32 v18, 0x37800000, v17
	v_cndmask_b32_e32 v17, v17, v18, vcc
	v_cmp_class_f32_e32 vcc, v16, v97
	s_nop 1
	v_cndmask_b32_e32 v100, v17, v16, vcc
	v_pk_add_f32 v[16:17], v[100:101], v[98:99] op_sel_hi:[1,0] neg_lo:[0,1] neg_hi:[0,1]
	v_pk_fma_f32 v[18:19], v[96:97], v[100:101], 1.0 op_sel_hi:[0,1,0] neg_lo:[1,0,0] neg_hi:[1,0,0]
	v_cmp_gt_f32_e32 vcc, 0, v16
	v_cmp_gt_f32_e64 s[0:1], 0, v17
	v_cmp_lt_f32_e64 s[12:13], v16, v59
	v_cndmask_b32_e32 v100, 0, v113, vcc
	v_cndmask_b32_e64 v101, 0, v113, s[0:1]
	v_pk_fma_f32 v[18:19], v[18:19], v[100:101], v[108:109]
	v_pk_fma_f32 v[100:101], v[58:59], v[16:17], 1.0 op_sel_hi:[0,1,0] neg_lo:[1,0,0] neg_hi:[1,0,0]
	v_cmp_lt_f32_e64 s[16:17], v17, v59
	v_cndmask_b32_e64 v101, v101, 1.0, s[0:1]
	v_cndmask_b32_e64 v100, v100, 1.0, vcc
	v_cndmask_b32_e64 v109, 0, 1.0, s[16:17]
	v_cndmask_b32_e64 v108, 0, 1.0, s[12:13]
	v_pk_mul_f32 v[100:101], v[108:109], v[100:101]
	v_cmp_lt_f32_e64 s[12:13], v17, v99
	v_pk_mul_f32 v[100:101], v[94:95], v[100:101] op_sel_hi:[0,1]
	v_cmp_lt_f32_e64 s[16:17], v16, v99
	v_cndmask_b32_e64 v101, v101, -|v101|, s[34:35]
	v_cndmask_b32_e64 v100, v100, -|v100|, s[34:35]
	s_and_b64 s[16:17], s[10:11], s[16:17]
	s_and_b64 s[12:13], s[10:11], s[12:13]
	v_pk_fma_f32 v[18:19], v[100:101], s[28:29], v[18:19] op_sel_hi:[1,0,1]
	v_pk_fma_f32 v[100:101], v[68:69], v[16:17], 1.0 op_sel_hi:[0,1,0] neg_lo:[1,0,0] neg_hi:[1,0,0]
	v_cndmask_b32_e64 v17, 0, 1.0, s[12:13]
	v_cndmask_b32_e64 v16, 0, 1.0, s[16:17]
	v_pk_mul_f32 v[16:17], v[48:49], v[16:17] op_sel_hi:[0,1]
	v_cndmask_b32_e64 v101, v101, 1.0, s[0:1]
	v_cndmask_b32_e64 v100, v100, 1.0, vcc
	v_pk_fma_f32 v[108:109], v[100:101], v[16:17], v[18:19]
	scratch_load_dwordx2 v[16:17], off, off offset:3392 ; 8-byte Folded Reload
	scratch_load_dwordx2 v[18:19], off, off offset:3400 ; 8-byte Folded Reload
	;; [unrolled: 1-line block ×3, first 2 shown]
	s_waitcnt vmcnt(2)
	v_pk_add_f32 v[16:17], v[16:17], v[78:79] op_sel_hi:[1,0] neg_lo:[0,1] neg_hi:[0,1]
	s_waitcnt vmcnt(1)
	v_pk_add_f32 v[18:19], v[18:19], v[78:79] op_sel:[0,1] neg_lo:[0,1] neg_hi:[0,1]
	s_waitcnt vmcnt(0)
	v_pk_add_f32 v[100:101], v[100:101], v[80:81] op_sel_hi:[1,0] neg_lo:[0,1] neg_hi:[0,1]
	v_pk_mul_f32 v[18:19], v[18:19], v[18:19]
	s_nop 0
	v_pk_fma_f32 v[16:17], v[16:17], v[16:17], v[18:19]
	s_nop 0
	v_pk_fma_f32 v[16:17], v[100:101], v[100:101], v[16:17]
	s_nop 0
	v_cmp_gt_f32_e32 vcc, s39, v17
	v_mul_f32_e32 v18, 0x4f800000, v17
	s_nop 0
	v_cndmask_b32_e32 v17, v17, v18, vcc
	v_sqrt_f32_e32 v18, v17
	s_nop 0
	v_add_u32_e32 v19, -1, v18
	v_fma_f32 v81, -v19, v18, v17
	v_cmp_ge_f32_e64 s[0:1], 0, v81
	v_add_u32_e32 v81, 1, v18
	s_nop 0
	v_cndmask_b32_e64 v19, v18, v19, s[0:1]
	v_fma_f32 v18, -v81, v18, v17
	v_cmp_lt_f32_e64 s[0:1], 0, v18
	s_nop 1
	v_cndmask_b32_e64 v18, v19, v81, s[0:1]
	v_mul_f32_e32 v19, 0x37800000, v18
	v_cndmask_b32_e32 v18, v18, v19, vcc
	v_cmp_class_f32_e32 vcc, v17, v97
	s_nop 1
	v_cndmask_b32_e32 v17, v18, v17, vcc
	v_cmp_gt_f32_e32 vcc, s39, v16
	v_mul_f32_e32 v18, 0x4f800000, v16
	s_nop 0
	v_cndmask_b32_e32 v16, v16, v18, vcc
	v_sqrt_f32_e32 v18, v16
	s_nop 0
	v_add_u32_e32 v19, -1, v18
	v_fma_f32 v81, -v19, v18, v16
	v_cmp_ge_f32_e64 s[0:1], 0, v81
	v_add_u32_e32 v81, 1, v18
	s_nop 0
	v_cndmask_b32_e64 v19, v18, v19, s[0:1]
	v_fma_f32 v18, -v81, v18, v16
	v_cmp_lt_f32_e64 s[0:1], 0, v18
	s_nop 1
	v_cndmask_b32_e64 v18, v19, v81, s[0:1]
	v_mul_f32_e32 v19, 0x37800000, v18
	v_cndmask_b32_e32 v18, v18, v19, vcc
	v_cmp_class_f32_e32 vcc, v16, v97
	s_nop 1
	v_cndmask_b32_e32 v16, v18, v16, vcc
	v_pk_add_f32 v[18:19], v[16:17], v[98:99] op_sel_hi:[1,0] neg_lo:[0,1] neg_hi:[0,1]
	v_pk_fma_f32 v[16:17], v[96:97], v[16:17], 1.0 op_sel_hi:[0,1,0] neg_lo:[1,0,0] neg_hi:[1,0,0]
	v_cmp_gt_f32_e32 vcc, 0, v18
	v_cmp_gt_f32_e64 s[0:1], 0, v19
	v_cmp_lt_f32_e64 s[12:13], v18, v59
	v_cndmask_b32_e32 v100, 0, v113, vcc
	v_cndmask_b32_e64 v101, 0, v113, s[0:1]
	v_pk_fma_f32 v[16:17], v[16:17], v[100:101], v[102:103]
	v_pk_fma_f32 v[100:101], v[58:59], v[18:19], 1.0 op_sel_hi:[0,1,0] neg_lo:[1,0,0] neg_hi:[1,0,0]
	v_cmp_lt_f32_e64 s[16:17], v19, v59
	v_cndmask_b32_e64 v101, v101, 1.0, s[0:1]
	v_cndmask_b32_e64 v100, v100, 1.0, vcc
	v_cndmask_b32_e64 v103, 0, 1.0, s[16:17]
	v_cndmask_b32_e64 v102, 0, 1.0, s[12:13]
	v_pk_mul_f32 v[100:101], v[102:103], v[100:101]
	v_cmp_lt_f32_e64 s[12:13], v19, v99
	v_pk_mul_f32 v[100:101], v[94:95], v[100:101] op_sel_hi:[0,1]
	v_cmp_lt_f32_e64 s[16:17], v18, v99
	v_cndmask_b32_e64 v101, v101, -|v101|, s[34:35]
	v_cndmask_b32_e64 v100, v100, -|v100|, s[34:35]
	s_and_b64 s[16:17], s[10:11], s[16:17]
	s_and_b64 s[12:13], s[10:11], s[12:13]
	v_pk_fma_f32 v[16:17], v[100:101], s[28:29], v[16:17] op_sel_hi:[1,0,1]
	v_pk_fma_f32 v[100:101], v[68:69], v[18:19], 1.0 op_sel_hi:[0,1,0] neg_lo:[1,0,0] neg_hi:[1,0,0]
	v_cndmask_b32_e64 v19, 0, 1.0, s[12:13]
	v_cndmask_b32_e64 v18, 0, 1.0, s[16:17]
	v_pk_mul_f32 v[18:19], v[48:49], v[18:19] op_sel_hi:[0,1]
	v_cndmask_b32_e64 v101, v101, 1.0, s[0:1]
	v_cndmask_b32_e64 v100, v100, 1.0, vcc
	v_pk_fma_f32 v[102:103], v[100:101], v[18:19], v[16:17]
	scratch_load_dwordx2 v[16:17], off, off offset:3408 ; 8-byte Folded Reload
	scratch_load_dwordx2 v[18:19], off, off offset:3724 ; 8-byte Folded Reload
	s_waitcnt vmcnt(1)
	v_pk_add_f32 v[100:101], v[16:17], v[78:79] op_sel_hi:[1,0] neg_lo:[0,1] neg_hi:[0,1]
	scratch_load_dwordx2 v[16:17], off, off offset:3416 ; 8-byte Folded Reload
	s_waitcnt vmcnt(1)
	v_pk_add_f32 v[18:19], v[18:19], v[80:81] op_sel_hi:[1,0] neg_lo:[0,1] neg_hi:[0,1]
	s_waitcnt vmcnt(0)
	v_pk_add_f32 v[16:17], v[16:17], v[78:79] op_sel:[0,1] neg_lo:[0,1] neg_hi:[0,1]
	s_nop 0
	v_pk_mul_f32 v[16:17], v[16:17], v[16:17]
	s_nop 0
	v_pk_fma_f32 v[16:17], v[100:101], v[100:101], v[16:17]
	s_nop 0
	v_pk_fma_f32 v[16:17], v[18:19], v[18:19], v[16:17]
	s_nop 0
	v_cmp_gt_f32_e32 vcc, s39, v17
	v_mul_f32_e32 v18, 0x4f800000, v17
	s_nop 0
	v_cndmask_b32_e32 v17, v17, v18, vcc
	v_sqrt_f32_e32 v18, v17
	s_nop 0
	v_add_u32_e32 v19, -1, v18
	v_fma_f32 v81, -v19, v18, v17
	v_cmp_ge_f32_e64 s[0:1], 0, v81
	v_add_u32_e32 v81, 1, v18
	s_nop 0
	v_cndmask_b32_e64 v19, v18, v19, s[0:1]
	v_fma_f32 v18, -v81, v18, v17
	v_cmp_lt_f32_e64 s[0:1], 0, v18
	s_nop 1
	v_cndmask_b32_e64 v18, v19, v81, s[0:1]
	v_mul_f32_e32 v19, 0x37800000, v18
	v_cndmask_b32_e32 v18, v18, v19, vcc
	v_cmp_class_f32_e32 vcc, v17, v97
	s_nop 1
	v_cndmask_b32_e32 v101, v18, v17, vcc
	v_cmp_gt_f32_e32 vcc, s39, v16
	v_mul_f32_e32 v17, 0x4f800000, v16
	s_nop 0
	v_cndmask_b32_e32 v16, v16, v17, vcc
	v_sqrt_f32_e32 v17, v16
	s_nop 0
	v_add_u32_e32 v18, -1, v17
	v_fma_f32 v19, -v18, v17, v16
	v_cmp_ge_f32_e64 s[0:1], 0, v19
	v_add_u32_e32 v19, 1, v17
	s_nop 0
	v_cndmask_b32_e64 v18, v17, v18, s[0:1]
	v_fma_f32 v17, -v19, v17, v16
	v_cmp_lt_f32_e64 s[0:1], 0, v17
	s_nop 1
	v_cndmask_b32_e64 v17, v18, v19, s[0:1]
	v_mul_f32_e32 v18, 0x37800000, v17
	v_cndmask_b32_e32 v17, v17, v18, vcc
	v_cmp_class_f32_e32 vcc, v16, v97
	s_nop 1
	v_cndmask_b32_e32 v100, v17, v16, vcc
	v_pk_add_f32 v[16:17], v[100:101], v[98:99] op_sel_hi:[1,0] neg_lo:[0,1] neg_hi:[0,1]
	v_pk_fma_f32 v[18:19], v[96:97], v[100:101], 1.0 op_sel_hi:[0,1,0] neg_lo:[1,0,0] neg_hi:[1,0,0]
	v_cmp_gt_f32_e32 vcc, 0, v16
	v_cmp_gt_f32_e64 s[0:1], 0, v17
	v_cmp_lt_f32_e64 s[12:13], v16, v59
	v_cndmask_b32_e32 v100, 0, v113, vcc
	v_cndmask_b32_e64 v101, 0, v113, s[0:1]
	v_pk_fma_f32 v[18:19], v[18:19], v[100:101], v[104:105]
	v_pk_fma_f32 v[100:101], v[58:59], v[16:17], 1.0 op_sel_hi:[0,1,0] neg_lo:[1,0,0] neg_hi:[1,0,0]
	v_cmp_lt_f32_e64 s[16:17], v17, v59
	v_cndmask_b32_e64 v101, v101, 1.0, s[0:1]
	v_cndmask_b32_e64 v100, v100, 1.0, vcc
	v_cndmask_b32_e64 v105, 0, 1.0, s[16:17]
	v_cndmask_b32_e64 v104, 0, 1.0, s[12:13]
	v_pk_mul_f32 v[100:101], v[104:105], v[100:101]
	v_cmp_lt_f32_e64 s[12:13], v17, v99
	v_pk_mul_f32 v[100:101], v[94:95], v[100:101] op_sel_hi:[0,1]
	v_cmp_lt_f32_e64 s[16:17], v16, v99
	v_cndmask_b32_e64 v101, v101, -|v101|, s[34:35]
	v_cndmask_b32_e64 v100, v100, -|v100|, s[34:35]
	s_and_b64 s[16:17], s[10:11], s[16:17]
	s_and_b64 s[12:13], s[10:11], s[12:13]
	v_pk_fma_f32 v[18:19], v[100:101], s[28:29], v[18:19] op_sel_hi:[1,0,1]
	v_pk_fma_f32 v[100:101], v[68:69], v[16:17], 1.0 op_sel_hi:[0,1,0] neg_lo:[1,0,0] neg_hi:[1,0,0]
	v_cndmask_b32_e64 v17, 0, 1.0, s[12:13]
	v_cndmask_b32_e64 v16, 0, 1.0, s[16:17]
	v_pk_mul_f32 v[16:17], v[48:49], v[16:17] op_sel_hi:[0,1]
	v_cndmask_b32_e64 v101, v101, 1.0, s[0:1]
	v_cndmask_b32_e64 v100, v100, 1.0, vcc
	v_pk_fma_f32 v[104:105], v[100:101], v[16:17], v[18:19]
	scratch_load_dwordx2 v[16:17], off, off offset:3424 ; 8-byte Folded Reload
	scratch_load_dwordx2 v[18:19], off, off offset:3436 ; 8-byte Folded Reload
	;; [unrolled: 1-line block ×3, first 2 shown]
	s_waitcnt vmcnt(2)
	v_pk_add_f32 v[16:17], v[16:17], v[78:79] op_sel_hi:[1,0] neg_lo:[0,1] neg_hi:[0,1]
	s_waitcnt vmcnt(1)
	v_pk_add_f32 v[18:19], v[18:19], v[78:79] op_sel:[0,1] neg_lo:[0,1] neg_hi:[0,1]
	s_waitcnt vmcnt(0)
	v_pk_add_f32 v[100:101], v[100:101], v[80:81] op_sel_hi:[1,0] neg_lo:[0,1] neg_hi:[0,1]
	v_pk_mul_f32 v[18:19], v[18:19], v[18:19]
	s_nop 0
	v_pk_fma_f32 v[16:17], v[16:17], v[16:17], v[18:19]
	s_nop 0
	v_pk_fma_f32 v[16:17], v[100:101], v[100:101], v[16:17]
	s_nop 0
	v_cmp_gt_f32_e32 vcc, s39, v17
	v_mul_f32_e32 v18, 0x4f800000, v17
	s_nop 0
	v_cndmask_b32_e32 v17, v17, v18, vcc
	v_sqrt_f32_e32 v18, v17
	s_nop 0
	v_add_u32_e32 v19, -1, v18
	v_fma_f32 v81, -v19, v18, v17
	v_cmp_ge_f32_e64 s[0:1], 0, v81
	v_add_u32_e32 v81, 1, v18
	s_nop 0
	v_cndmask_b32_e64 v19, v18, v19, s[0:1]
	v_fma_f32 v18, -v81, v18, v17
	v_cmp_lt_f32_e64 s[0:1], 0, v18
	s_nop 1
	v_cndmask_b32_e64 v18, v19, v81, s[0:1]
	v_mul_f32_e32 v19, 0x37800000, v18
	v_cndmask_b32_e32 v18, v18, v19, vcc
	v_cmp_class_f32_e32 vcc, v17, v97
	s_nop 1
	v_cndmask_b32_e32 v17, v18, v17, vcc
	v_cmp_gt_f32_e32 vcc, s39, v16
	v_mul_f32_e32 v18, 0x4f800000, v16
	s_nop 0
	v_cndmask_b32_e32 v16, v16, v18, vcc
	v_sqrt_f32_e32 v18, v16
	s_nop 0
	v_add_u32_e32 v19, -1, v18
	v_fma_f32 v81, -v19, v18, v16
	v_cmp_ge_f32_e64 s[0:1], 0, v81
	v_add_u32_e32 v81, 1, v18
	s_nop 0
	v_cndmask_b32_e64 v19, v18, v19, s[0:1]
	v_fma_f32 v18, -v81, v18, v16
	v_cmp_lt_f32_e64 s[0:1], 0, v18
	s_nop 1
	v_cndmask_b32_e64 v18, v19, v81, s[0:1]
	v_mul_f32_e32 v19, 0x37800000, v18
	v_cndmask_b32_e32 v18, v18, v19, vcc
	v_cmp_class_f32_e32 vcc, v16, v97
	s_nop 1
	v_cndmask_b32_e32 v16, v18, v16, vcc
	v_pk_add_f32 v[18:19], v[16:17], v[98:99] op_sel_hi:[1,0] neg_lo:[0,1] neg_hi:[0,1]
	v_pk_fma_f32 v[16:17], v[96:97], v[16:17], 1.0 op_sel_hi:[0,1,0] neg_lo:[1,0,0] neg_hi:[1,0,0]
	v_cmp_gt_f32_e32 vcc, 0, v18
	v_cmp_gt_f32_e64 s[0:1], 0, v19
	v_cmp_lt_f32_e64 s[12:13], v18, v59
	v_cndmask_b32_e32 v100, 0, v113, vcc
	v_cndmask_b32_e64 v101, 0, v113, s[0:1]
	v_pk_fma_f32 v[16:17], v[16:17], v[100:101], v[90:91]
	v_pk_fma_f32 v[90:91], v[58:59], v[18:19], 1.0 op_sel_hi:[0,1,0] neg_lo:[1,0,0] neg_hi:[1,0,0]
	v_cmp_lt_f32_e64 s[16:17], v19, v59
	v_cndmask_b32_e64 v91, v91, 1.0, s[0:1]
	v_cndmask_b32_e64 v90, v90, 1.0, vcc
	v_cndmask_b32_e64 v101, 0, 1.0, s[16:17]
	v_cndmask_b32_e64 v100, 0, 1.0, s[12:13]
	v_pk_mul_f32 v[90:91], v[100:101], v[90:91]
	v_cmp_lt_f32_e64 s[12:13], v19, v99
	v_pk_mul_f32 v[90:91], v[94:95], v[90:91] op_sel_hi:[0,1]
	v_cmp_lt_f32_e64 s[16:17], v18, v99
	v_cndmask_b32_e64 v91, v91, -|v91|, s[34:35]
	v_cndmask_b32_e64 v90, v90, -|v90|, s[34:35]
	s_and_b64 s[16:17], s[10:11], s[16:17]
	s_and_b64 s[12:13], s[10:11], s[12:13]
	v_pk_fma_f32 v[16:17], v[90:91], s[28:29], v[16:17] op_sel_hi:[1,0,1]
	v_pk_fma_f32 v[90:91], v[68:69], v[18:19], 1.0 op_sel_hi:[0,1,0] neg_lo:[1,0,0] neg_hi:[1,0,0]
	v_cndmask_b32_e64 v19, 0, 1.0, s[12:13]
	v_cndmask_b32_e64 v18, 0, 1.0, s[16:17]
	v_pk_mul_f32 v[18:19], v[48:49], v[18:19] op_sel_hi:[0,1]
	v_cndmask_b32_e64 v91, v91, 1.0, s[0:1]
	v_cndmask_b32_e64 v90, v90, 1.0, vcc
	v_pk_fma_f32 v[90:91], v[90:91], v[18:19], v[16:17]
	scratch_load_dwordx2 v[16:17], off, off offset:3444 ; 8-byte Folded Reload
	scratch_load_dwordx2 v[18:19], off, off offset:3740 ; 8-byte Folded Reload
	s_waitcnt vmcnt(1)
	v_pk_add_f32 v[100:101], v[16:17], v[78:79] op_sel_hi:[1,0] neg_lo:[0,1] neg_hi:[0,1]
	scratch_load_dwordx2 v[16:17], off, off offset:3456 ; 8-byte Folded Reload
	s_waitcnt vmcnt(1)
	v_pk_add_f32 v[18:19], v[18:19], v[80:81] op_sel_hi:[1,0] neg_lo:[0,1] neg_hi:[0,1]
	s_waitcnt vmcnt(0)
	v_pk_add_f32 v[16:17], v[16:17], v[78:79] op_sel:[0,1] neg_lo:[0,1] neg_hi:[0,1]
	s_nop 0
	v_pk_mul_f32 v[16:17], v[16:17], v[16:17]
	s_nop 0
	v_pk_fma_f32 v[16:17], v[100:101], v[100:101], v[16:17]
	s_nop 0
	v_pk_fma_f32 v[16:17], v[18:19], v[18:19], v[16:17]
	s_nop 0
	v_cmp_gt_f32_e32 vcc, s39, v17
	v_mul_f32_e32 v18, 0x4f800000, v17
	s_nop 0
	v_cndmask_b32_e32 v17, v17, v18, vcc
	v_sqrt_f32_e32 v18, v17
	s_nop 0
	v_add_u32_e32 v19, -1, v18
	v_fma_f32 v81, -v19, v18, v17
	v_cmp_ge_f32_e64 s[0:1], 0, v81
	v_add_u32_e32 v81, 1, v18
	s_nop 0
	v_cndmask_b32_e64 v19, v18, v19, s[0:1]
	v_fma_f32 v18, -v81, v18, v17
	v_cmp_lt_f32_e64 s[0:1], 0, v18
	s_nop 1
	v_cndmask_b32_e64 v18, v19, v81, s[0:1]
	v_mul_f32_e32 v19, 0x37800000, v18
	v_cndmask_b32_e32 v18, v18, v19, vcc
	v_cmp_class_f32_e32 vcc, v17, v97
	s_nop 1
	v_cndmask_b32_e32 v101, v18, v17, vcc
	v_cmp_gt_f32_e32 vcc, s39, v16
	v_mul_f32_e32 v17, 0x4f800000, v16
	s_nop 0
	v_cndmask_b32_e32 v16, v16, v17, vcc
	v_sqrt_f32_e32 v17, v16
	s_nop 0
	v_add_u32_e32 v18, -1, v17
	v_fma_f32 v19, -v18, v17, v16
	v_cmp_ge_f32_e64 s[0:1], 0, v19
	v_add_u32_e32 v19, 1, v17
	s_nop 0
	v_cndmask_b32_e64 v18, v17, v18, s[0:1]
	v_fma_f32 v17, -v19, v17, v16
	v_cmp_lt_f32_e64 s[0:1], 0, v17
	s_nop 1
	v_cndmask_b32_e64 v17, v18, v19, s[0:1]
	v_mul_f32_e32 v18, 0x37800000, v17
	v_cndmask_b32_e32 v17, v17, v18, vcc
	v_cmp_class_f32_e32 vcc, v16, v97
	s_nop 1
	v_cndmask_b32_e32 v100, v17, v16, vcc
	v_pk_add_f32 v[16:17], v[100:101], v[98:99] op_sel_hi:[1,0] neg_lo:[0,1] neg_hi:[0,1]
	v_pk_fma_f32 v[18:19], v[96:97], v[100:101], 1.0 op_sel_hi:[0,1,0] neg_lo:[1,0,0] neg_hi:[1,0,0]
	v_cmp_gt_f32_e32 vcc, 0, v16
	v_cmp_gt_f32_e64 s[0:1], 0, v17
	v_cmp_lt_f32_e64 s[12:13], v16, v59
	v_cndmask_b32_e32 v100, 0, v113, vcc
	v_cndmask_b32_e64 v101, 0, v113, s[0:1]
	v_pk_fma_f32 v[18:19], v[18:19], v[100:101], v[92:93]
	v_pk_fma_f32 v[92:93], v[58:59], v[16:17], 1.0 op_sel_hi:[0,1,0] neg_lo:[1,0,0] neg_hi:[1,0,0]
	v_cmp_lt_f32_e64 s[16:17], v17, v59
	v_cndmask_b32_e64 v93, v93, 1.0, s[0:1]
	v_cndmask_b32_e64 v92, v92, 1.0, vcc
	v_cndmask_b32_e64 v101, 0, 1.0, s[16:17]
	v_cndmask_b32_e64 v100, 0, 1.0, s[12:13]
	v_pk_mul_f32 v[92:93], v[100:101], v[92:93]
	v_cmp_lt_f32_e64 s[12:13], v17, v99
	v_pk_mul_f32 v[92:93], v[94:95], v[92:93] op_sel_hi:[0,1]
	v_cmp_lt_f32_e64 s[16:17], v16, v99
	v_cndmask_b32_e64 v93, v93, -|v93|, s[34:35]
	v_cndmask_b32_e64 v92, v92, -|v92|, s[34:35]
	s_and_b64 s[16:17], s[10:11], s[16:17]
	s_and_b64 s[12:13], s[10:11], s[12:13]
	v_pk_fma_f32 v[18:19], v[92:93], s[28:29], v[18:19] op_sel_hi:[1,0,1]
	v_pk_fma_f32 v[92:93], v[68:69], v[16:17], 1.0 op_sel_hi:[0,1,0] neg_lo:[1,0,0] neg_hi:[1,0,0]
	v_cndmask_b32_e64 v17, 0, 1.0, s[12:13]
	v_cndmask_b32_e64 v16, 0, 1.0, s[16:17]
	v_pk_mul_f32 v[16:17], v[48:49], v[16:17] op_sel_hi:[0,1]
	v_cndmask_b32_e64 v93, v93, 1.0, s[0:1]
	v_cndmask_b32_e64 v92, v92, 1.0, vcc
	v_pk_fma_f32 v[92:93], v[92:93], v[16:17], v[18:19]
	scratch_load_dwordx2 v[16:17], off, off offset:3464 ; 8-byte Folded Reload
	scratch_load_dwordx2 v[18:19], off, off offset:3472 ; 8-byte Folded Reload
	;; [unrolled: 1-line block ×3, first 2 shown]
	s_waitcnt vmcnt(2)
	v_pk_add_f32 v[16:17], v[16:17], v[78:79] op_sel_hi:[1,0] neg_lo:[0,1] neg_hi:[0,1]
	s_waitcnt vmcnt(1)
	v_pk_add_f32 v[18:19], v[18:19], v[78:79] op_sel:[0,1] neg_lo:[0,1] neg_hi:[0,1]
	s_waitcnt vmcnt(0)
	v_pk_add_f32 v[100:101], v[100:101], v[80:81] op_sel_hi:[1,0] neg_lo:[0,1] neg_hi:[0,1]
	v_pk_mul_f32 v[18:19], v[18:19], v[18:19]
	s_nop 0
	v_pk_fma_f32 v[16:17], v[16:17], v[16:17], v[18:19]
	s_nop 0
	v_pk_fma_f32 v[16:17], v[100:101], v[100:101], v[16:17]
	s_nop 0
	v_cmp_gt_f32_e32 vcc, s39, v17
	v_mul_f32_e32 v18, 0x4f800000, v17
	s_nop 0
	v_cndmask_b32_e32 v17, v17, v18, vcc
	v_sqrt_f32_e32 v18, v17
	s_nop 0
	v_add_u32_e32 v19, -1, v18
	v_fma_f32 v81, -v19, v18, v17
	v_cmp_ge_f32_e64 s[0:1], 0, v81
	v_add_u32_e32 v81, 1, v18
	s_nop 0
	v_cndmask_b32_e64 v19, v18, v19, s[0:1]
	v_fma_f32 v18, -v81, v18, v17
	v_cmp_lt_f32_e64 s[0:1], 0, v18
	s_nop 1
	v_cndmask_b32_e64 v18, v19, v81, s[0:1]
	v_mul_f32_e32 v19, 0x37800000, v18
	v_cndmask_b32_e32 v18, v18, v19, vcc
	v_cmp_class_f32_e32 vcc, v17, v97
	s_nop 1
	v_cndmask_b32_e32 v17, v18, v17, vcc
	v_cmp_gt_f32_e32 vcc, s39, v16
	v_mul_f32_e32 v18, 0x4f800000, v16
	s_nop 0
	v_cndmask_b32_e32 v16, v16, v18, vcc
	v_sqrt_f32_e32 v18, v16
	s_nop 0
	v_add_u32_e32 v19, -1, v18
	v_fma_f32 v81, -v19, v18, v16
	v_cmp_ge_f32_e64 s[0:1], 0, v81
	v_add_u32_e32 v81, 1, v18
	s_nop 0
	v_cndmask_b32_e64 v19, v18, v19, s[0:1]
	v_fma_f32 v18, -v81, v18, v16
	v_cmp_lt_f32_e64 s[0:1], 0, v18
	s_nop 1
	v_cndmask_b32_e64 v18, v19, v81, s[0:1]
	v_mul_f32_e32 v19, 0x37800000, v18
	v_cndmask_b32_e32 v18, v18, v19, vcc
	v_cmp_class_f32_e32 vcc, v16, v97
	s_nop 1
	v_cndmask_b32_e32 v16, v18, v16, vcc
	v_pk_add_f32 v[18:19], v[16:17], v[98:99] op_sel_hi:[1,0] neg_lo:[0,1] neg_hi:[0,1]
	v_pk_fma_f32 v[16:17], v[96:97], v[16:17], 1.0 op_sel_hi:[0,1,0] neg_lo:[1,0,0] neg_hi:[1,0,0]
	v_cmp_gt_f32_e32 vcc, 0, v18
	v_cmp_gt_f32_e64 s[0:1], 0, v19
	v_cmp_lt_f32_e64 s[12:13], v18, v59
	v_cndmask_b32_e32 v100, 0, v113, vcc
	v_cndmask_b32_e64 v101, 0, v113, s[0:1]
	v_pk_fma_f32 v[16:17], v[16:17], v[100:101], v[86:87]
	v_pk_fma_f32 v[86:87], v[58:59], v[18:19], 1.0 op_sel_hi:[0,1,0] neg_lo:[1,0,0] neg_hi:[1,0,0]
	v_cmp_lt_f32_e64 s[16:17], v19, v59
	v_cndmask_b32_e64 v87, v87, 1.0, s[0:1]
	v_cndmask_b32_e64 v86, v86, 1.0, vcc
	v_cndmask_b32_e64 v101, 0, 1.0, s[16:17]
	v_cndmask_b32_e64 v100, 0, 1.0, s[12:13]
	v_pk_mul_f32 v[86:87], v[100:101], v[86:87]
	v_cmp_lt_f32_e64 s[12:13], v19, v99
	v_pk_mul_f32 v[86:87], v[94:95], v[86:87] op_sel_hi:[0,1]
	v_cmp_lt_f32_e64 s[16:17], v18, v99
	v_cndmask_b32_e64 v87, v87, -|v87|, s[34:35]
	v_cndmask_b32_e64 v86, v86, -|v86|, s[34:35]
	s_and_b64 s[16:17], s[10:11], s[16:17]
	s_and_b64 s[12:13], s[10:11], s[12:13]
	v_pk_fma_f32 v[16:17], v[86:87], s[28:29], v[16:17] op_sel_hi:[1,0,1]
	v_pk_fma_f32 v[86:87], v[68:69], v[18:19], 1.0 op_sel_hi:[0,1,0] neg_lo:[1,0,0] neg_hi:[1,0,0]
	v_cndmask_b32_e64 v19, 0, 1.0, s[12:13]
	v_cndmask_b32_e64 v18, 0, 1.0, s[16:17]
	v_pk_mul_f32 v[18:19], v[48:49], v[18:19] op_sel_hi:[0,1]
	v_cndmask_b32_e64 v87, v87, 1.0, s[0:1]
	v_cndmask_b32_e64 v86, v86, 1.0, vcc
	v_pk_fma_f32 v[86:87], v[86:87], v[18:19], v[16:17]
	scratch_load_dwordx2 v[16:17], off, off offset:3480 ; 8-byte Folded Reload
	scratch_load_dwordx2 v[18:19], off, off offset:3756 ; 8-byte Folded Reload
	s_waitcnt vmcnt(1)
	v_pk_add_f32 v[100:101], v[16:17], v[78:79] op_sel_hi:[1,0] neg_lo:[0,1] neg_hi:[0,1]
	scratch_load_dwordx2 v[16:17], off, off offset:3488 ; 8-byte Folded Reload
	s_waitcnt vmcnt(1)
	v_pk_add_f32 v[18:19], v[18:19], v[80:81] op_sel_hi:[1,0] neg_lo:[0,1] neg_hi:[0,1]
	s_waitcnt vmcnt(0)
	v_pk_add_f32 v[16:17], v[16:17], v[78:79] op_sel:[0,1] neg_lo:[0,1] neg_hi:[0,1]
	s_nop 0
	v_pk_mul_f32 v[16:17], v[16:17], v[16:17]
	s_nop 0
	v_pk_fma_f32 v[16:17], v[100:101], v[100:101], v[16:17]
	s_nop 0
	v_pk_fma_f32 v[16:17], v[18:19], v[18:19], v[16:17]
	s_nop 0
	v_cmp_gt_f32_e32 vcc, s39, v17
	v_mul_f32_e32 v18, 0x4f800000, v17
	s_nop 0
	v_cndmask_b32_e32 v17, v17, v18, vcc
	v_sqrt_f32_e32 v18, v17
	s_nop 0
	v_add_u32_e32 v19, -1, v18
	v_fma_f32 v81, -v19, v18, v17
	v_cmp_ge_f32_e64 s[0:1], 0, v81
	v_add_u32_e32 v81, 1, v18
	s_nop 0
	v_cndmask_b32_e64 v19, v18, v19, s[0:1]
	v_fma_f32 v18, -v81, v18, v17
	v_cmp_lt_f32_e64 s[0:1], 0, v18
	s_nop 1
	v_cndmask_b32_e64 v18, v19, v81, s[0:1]
	v_mul_f32_e32 v19, 0x37800000, v18
	v_cndmask_b32_e32 v18, v18, v19, vcc
	v_cmp_class_f32_e32 vcc, v17, v97
	s_nop 1
	v_cndmask_b32_e32 v101, v18, v17, vcc
	v_cmp_gt_f32_e32 vcc, s39, v16
	v_mul_f32_e32 v17, 0x4f800000, v16
	s_nop 0
	v_cndmask_b32_e32 v16, v16, v17, vcc
	v_sqrt_f32_e32 v17, v16
	s_nop 0
	v_add_u32_e32 v18, -1, v17
	v_fma_f32 v19, -v18, v17, v16
	v_cmp_ge_f32_e64 s[0:1], 0, v19
	v_add_u32_e32 v19, 1, v17
	s_nop 0
	v_cndmask_b32_e64 v18, v17, v18, s[0:1]
	v_fma_f32 v17, -v19, v17, v16
	v_cmp_lt_f32_e64 s[0:1], 0, v17
	s_nop 1
	v_cndmask_b32_e64 v17, v18, v19, s[0:1]
	v_mul_f32_e32 v18, 0x37800000, v17
	v_cndmask_b32_e32 v17, v17, v18, vcc
	v_cmp_class_f32_e32 vcc, v16, v97
	s_nop 1
	v_cndmask_b32_e32 v100, v17, v16, vcc
	v_pk_add_f32 v[16:17], v[100:101], v[98:99] op_sel_hi:[1,0] neg_lo:[0,1] neg_hi:[0,1]
	v_pk_fma_f32 v[18:19], v[96:97], v[100:101], 1.0 op_sel_hi:[0,1,0] neg_lo:[1,0,0] neg_hi:[1,0,0]
	v_cmp_gt_f32_e32 vcc, 0, v16
	v_cmp_gt_f32_e64 s[0:1], 0, v17
	v_cmp_lt_f32_e64 s[12:13], v16, v59
	v_cndmask_b32_e32 v100, 0, v113, vcc
	v_cndmask_b32_e64 v101, 0, v113, s[0:1]
	v_pk_fma_f32 v[18:19], v[18:19], v[100:101], v[88:89]
	v_pk_fma_f32 v[88:89], v[58:59], v[16:17], 1.0 op_sel_hi:[0,1,0] neg_lo:[1,0,0] neg_hi:[1,0,0]
	v_cmp_lt_f32_e64 s[16:17], v17, v59
	v_cndmask_b32_e64 v89, v89, 1.0, s[0:1]
	v_cndmask_b32_e64 v88, v88, 1.0, vcc
	v_cndmask_b32_e64 v101, 0, 1.0, s[16:17]
	v_cndmask_b32_e64 v100, 0, 1.0, s[12:13]
	v_pk_mul_f32 v[88:89], v[100:101], v[88:89]
	v_cmp_lt_f32_e64 s[12:13], v17, v99
	v_pk_mul_f32 v[88:89], v[94:95], v[88:89] op_sel_hi:[0,1]
	v_cmp_lt_f32_e64 s[16:17], v16, v99
	v_cndmask_b32_e64 v89, v89, -|v89|, s[34:35]
	v_cndmask_b32_e64 v88, v88, -|v88|, s[34:35]
	s_and_b64 s[16:17], s[10:11], s[16:17]
	s_and_b64 s[12:13], s[10:11], s[12:13]
	v_pk_fma_f32 v[18:19], v[88:89], s[28:29], v[18:19] op_sel_hi:[1,0,1]
	v_pk_fma_f32 v[88:89], v[68:69], v[16:17], 1.0 op_sel_hi:[0,1,0] neg_lo:[1,0,0] neg_hi:[1,0,0]
	v_cndmask_b32_e64 v17, 0, 1.0, s[12:13]
	v_cndmask_b32_e64 v16, 0, 1.0, s[16:17]
	v_pk_mul_f32 v[16:17], v[48:49], v[16:17] op_sel_hi:[0,1]
	v_cndmask_b32_e64 v89, v89, 1.0, s[0:1]
	v_cndmask_b32_e64 v88, v88, 1.0, vcc
	v_pk_fma_f32 v[88:89], v[88:89], v[16:17], v[18:19]
	scratch_load_dwordx2 v[16:17], off, off offset:3496 ; 8-byte Folded Reload
	scratch_load_dwordx2 v[18:19], off, off offset:3504 ; 8-byte Folded Reload
	;; [unrolled: 1-line block ×3, first 2 shown]
	s_waitcnt vmcnt(2)
	v_pk_add_f32 v[16:17], v[16:17], v[78:79] op_sel_hi:[1,0] neg_lo:[0,1] neg_hi:[0,1]
	s_waitcnt vmcnt(1)
	v_pk_add_f32 v[18:19], v[18:19], v[78:79] op_sel:[0,1] neg_lo:[0,1] neg_hi:[0,1]
	s_waitcnt vmcnt(0)
	v_pk_add_f32 v[100:101], v[100:101], v[80:81] op_sel_hi:[1,0] neg_lo:[0,1] neg_hi:[0,1]
	v_pk_mul_f32 v[18:19], v[18:19], v[18:19]
	s_nop 0
	v_pk_fma_f32 v[16:17], v[16:17], v[16:17], v[18:19]
	s_nop 0
	v_pk_fma_f32 v[16:17], v[100:101], v[100:101], v[16:17]
	s_nop 0
	v_cmp_gt_f32_e32 vcc, s39, v17
	v_mul_f32_e32 v18, 0x4f800000, v17
	s_nop 0
	v_cndmask_b32_e32 v17, v17, v18, vcc
	v_sqrt_f32_e32 v18, v17
	s_nop 0
	v_add_u32_e32 v19, -1, v18
	v_fma_f32 v81, -v19, v18, v17
	v_cmp_ge_f32_e64 s[0:1], 0, v81
	v_add_u32_e32 v81, 1, v18
	s_nop 0
	v_cndmask_b32_e64 v19, v18, v19, s[0:1]
	v_fma_f32 v18, -v81, v18, v17
	v_cmp_lt_f32_e64 s[0:1], 0, v18
	s_nop 1
	v_cndmask_b32_e64 v18, v19, v81, s[0:1]
	v_mul_f32_e32 v19, 0x37800000, v18
	v_cndmask_b32_e32 v18, v18, v19, vcc
	v_cmp_class_f32_e32 vcc, v17, v97
	s_nop 1
	v_cndmask_b32_e32 v17, v18, v17, vcc
	v_cmp_gt_f32_e32 vcc, s39, v16
	v_mul_f32_e32 v18, 0x4f800000, v16
	s_nop 0
	v_cndmask_b32_e32 v16, v16, v18, vcc
	v_sqrt_f32_e32 v18, v16
	s_nop 0
	v_add_u32_e32 v19, -1, v18
	v_fma_f32 v81, -v19, v18, v16
	v_cmp_ge_f32_e64 s[0:1], 0, v81
	v_add_u32_e32 v81, 1, v18
	s_nop 0
	v_cndmask_b32_e64 v19, v18, v19, s[0:1]
	v_fma_f32 v18, -v81, v18, v16
	v_cmp_lt_f32_e64 s[0:1], 0, v18
	s_nop 1
	v_cndmask_b32_e64 v18, v19, v81, s[0:1]
	v_mul_f32_e32 v19, 0x37800000, v18
	v_cndmask_b32_e32 v18, v18, v19, vcc
	v_cmp_class_f32_e32 vcc, v16, v97
	s_nop 1
	v_cndmask_b32_e32 v16, v18, v16, vcc
	v_pk_add_f32 v[18:19], v[16:17], v[98:99] op_sel_hi:[1,0] neg_lo:[0,1] neg_hi:[0,1]
	v_pk_fma_f32 v[16:17], v[96:97], v[16:17], 1.0 op_sel_hi:[0,1,0] neg_lo:[1,0,0] neg_hi:[1,0,0]
	v_cmp_gt_f32_e32 vcc, 0, v18
	v_cmp_gt_f32_e64 s[0:1], 0, v19
	v_cmp_lt_f32_e64 s[12:13], v18, v59
	v_cndmask_b32_e32 v100, 0, v113, vcc
	v_cndmask_b32_e64 v101, 0, v113, s[0:1]
	v_pk_fma_f32 v[16:17], v[16:17], v[100:101], v[64:65]
	v_pk_fma_f32 v[64:65], v[58:59], v[18:19], 1.0 op_sel_hi:[0,1,0] neg_lo:[1,0,0] neg_hi:[1,0,0]
	v_cmp_lt_f32_e64 s[16:17], v19, v59
	v_cndmask_b32_e64 v65, v65, 1.0, s[0:1]
	v_cndmask_b32_e64 v64, v64, 1.0, vcc
	v_cndmask_b32_e64 v101, 0, 1.0, s[16:17]
	v_cndmask_b32_e64 v100, 0, 1.0, s[12:13]
	v_pk_mul_f32 v[64:65], v[100:101], v[64:65]
	v_cmp_lt_f32_e64 s[12:13], v19, v99
	v_pk_mul_f32 v[64:65], v[94:95], v[64:65] op_sel_hi:[0,1]
	v_cmp_lt_f32_e64 s[16:17], v18, v99
	v_cndmask_b32_e64 v65, v65, -|v65|, s[34:35]
	v_cndmask_b32_e64 v64, v64, -|v64|, s[34:35]
	s_and_b64 s[16:17], s[10:11], s[16:17]
	s_and_b64 s[12:13], s[10:11], s[12:13]
	v_pk_fma_f32 v[16:17], v[64:65], s[28:29], v[16:17] op_sel_hi:[1,0,1]
	v_pk_fma_f32 v[64:65], v[68:69], v[18:19], 1.0 op_sel_hi:[0,1,0] neg_lo:[1,0,0] neg_hi:[1,0,0]
	v_cndmask_b32_e64 v19, 0, 1.0, s[12:13]
	v_cndmask_b32_e64 v18, 0, 1.0, s[16:17]
	v_pk_mul_f32 v[18:19], v[48:49], v[18:19] op_sel_hi:[0,1]
	v_cndmask_b32_e64 v65, v65, 1.0, s[0:1]
	v_cndmask_b32_e64 v64, v64, 1.0, vcc
	v_pk_fma_f32 v[64:65], v[64:65], v[18:19], v[16:17]
	scratch_load_dwordx2 v[16:17], off, off offset:3512 ; 8-byte Folded Reload
	scratch_load_dwordx2 v[18:19], off, off offset:3772 ; 8-byte Folded Reload
	s_waitcnt vmcnt(1)
	v_pk_add_f32 v[100:101], v[16:17], v[78:79] op_sel_hi:[1,0] neg_lo:[0,1] neg_hi:[0,1]
	scratch_load_dwordx2 v[16:17], off, off offset:3524 ; 8-byte Folded Reload
	s_waitcnt vmcnt(1)
	v_pk_add_f32 v[18:19], v[18:19], v[80:81] op_sel_hi:[1,0] neg_lo:[0,1] neg_hi:[0,1]
	s_waitcnt vmcnt(0)
	v_pk_add_f32 v[16:17], v[16:17], v[78:79] op_sel:[0,1] neg_lo:[0,1] neg_hi:[0,1]
	s_nop 0
	v_pk_mul_f32 v[16:17], v[16:17], v[16:17]
	s_nop 0
	v_pk_fma_f32 v[16:17], v[100:101], v[100:101], v[16:17]
	s_nop 0
	v_pk_fma_f32 v[16:17], v[18:19], v[18:19], v[16:17]
	s_nop 0
	v_cmp_gt_f32_e32 vcc, s39, v17
	v_mul_f32_e32 v18, 0x4f800000, v17
	s_nop 0
	v_cndmask_b32_e32 v17, v17, v18, vcc
	v_sqrt_f32_e32 v18, v17
	s_nop 0
	v_add_u32_e32 v19, -1, v18
	v_fma_f32 v81, -v19, v18, v17
	v_cmp_ge_f32_e64 s[0:1], 0, v81
	v_add_u32_e32 v81, 1, v18
	s_nop 0
	v_cndmask_b32_e64 v19, v18, v19, s[0:1]
	v_fma_f32 v18, -v81, v18, v17
	v_cmp_lt_f32_e64 s[0:1], 0, v18
	s_nop 1
	v_cndmask_b32_e64 v18, v19, v81, s[0:1]
	v_mul_f32_e32 v19, 0x37800000, v18
	v_cndmask_b32_e32 v18, v18, v19, vcc
	v_cmp_class_f32_e32 vcc, v17, v97
	s_nop 1
	v_cndmask_b32_e32 v101, v18, v17, vcc
	v_cmp_gt_f32_e32 vcc, s39, v16
	v_mul_f32_e32 v17, 0x4f800000, v16
	s_nop 0
	v_cndmask_b32_e32 v16, v16, v17, vcc
	v_sqrt_f32_e32 v17, v16
	s_nop 0
	v_add_u32_e32 v18, -1, v17
	v_fma_f32 v19, -v18, v17, v16
	v_cmp_ge_f32_e64 s[0:1], 0, v19
	v_add_u32_e32 v19, 1, v17
	s_nop 0
	v_cndmask_b32_e64 v18, v17, v18, s[0:1]
	v_fma_f32 v17, -v19, v17, v16
	v_cmp_lt_f32_e64 s[0:1], 0, v17
	s_nop 1
	v_cndmask_b32_e64 v17, v18, v19, s[0:1]
	v_mul_f32_e32 v18, 0x37800000, v17
	v_cndmask_b32_e32 v17, v17, v18, vcc
	v_cmp_class_f32_e32 vcc, v16, v97
	s_nop 1
	v_cndmask_b32_e32 v100, v17, v16, vcc
	v_pk_add_f32 v[16:17], v[100:101], v[98:99] op_sel_hi:[1,0] neg_lo:[0,1] neg_hi:[0,1]
	v_pk_fma_f32 v[18:19], v[96:97], v[100:101], 1.0 op_sel_hi:[0,1,0] neg_lo:[1,0,0] neg_hi:[1,0,0]
	v_cmp_gt_f32_e32 vcc, 0, v16
	v_cmp_gt_f32_e64 s[0:1], 0, v17
	v_cmp_lt_f32_e64 s[12:13], v16, v59
	v_cndmask_b32_e32 v100, 0, v113, vcc
	v_cndmask_b32_e64 v101, 0, v113, s[0:1]
	v_pk_fma_f32 v[18:19], v[18:19], v[100:101], v[66:67]
	v_pk_fma_f32 v[66:67], v[58:59], v[16:17], 1.0 op_sel_hi:[0,1,0] neg_lo:[1,0,0] neg_hi:[1,0,0]
	v_cmp_lt_f32_e64 s[16:17], v17, v59
	v_cndmask_b32_e64 v67, v67, 1.0, s[0:1]
	v_cndmask_b32_e64 v66, v66, 1.0, vcc
	v_cndmask_b32_e64 v101, 0, 1.0, s[16:17]
	v_cndmask_b32_e64 v100, 0, 1.0, s[12:13]
	v_pk_mul_f32 v[66:67], v[100:101], v[66:67]
	v_cmp_lt_f32_e64 s[12:13], v17, v99
	v_pk_mul_f32 v[66:67], v[94:95], v[66:67] op_sel_hi:[0,1]
	v_cmp_lt_f32_e64 s[16:17], v16, v99
	v_cndmask_b32_e64 v67, v67, -|v67|, s[34:35]
	v_cndmask_b32_e64 v66, v66, -|v66|, s[34:35]
	s_and_b64 s[16:17], s[10:11], s[16:17]
	s_and_b64 s[12:13], s[10:11], s[12:13]
	v_pk_fma_f32 v[18:19], v[66:67], s[28:29], v[18:19] op_sel_hi:[1,0,1]
	v_pk_fma_f32 v[66:67], v[68:69], v[16:17], 1.0 op_sel_hi:[0,1,0] neg_lo:[1,0,0] neg_hi:[1,0,0]
	v_cndmask_b32_e64 v17, 0, 1.0, s[12:13]
	v_cndmask_b32_e64 v16, 0, 1.0, s[16:17]
	v_pk_mul_f32 v[16:17], v[48:49], v[16:17] op_sel_hi:[0,1]
	v_cndmask_b32_e64 v67, v67, 1.0, s[0:1]
	v_cndmask_b32_e64 v66, v66, 1.0, vcc
	v_pk_fma_f32 v[66:67], v[66:67], v[16:17], v[18:19]
	scratch_load_dwordx2 v[16:17], off, off offset:3536 ; 8-byte Folded Reload
	scratch_load_dwordx2 v[18:19], off, off offset:3544 ; 8-byte Folded Reload
	;; [unrolled: 1-line block ×3, first 2 shown]
	s_waitcnt vmcnt(2)
	v_pk_add_f32 v[16:17], v[16:17], v[78:79] op_sel_hi:[1,0] neg_lo:[0,1] neg_hi:[0,1]
	s_waitcnt vmcnt(1)
	v_pk_add_f32 v[18:19], v[18:19], v[78:79] op_sel:[0,1] neg_lo:[0,1] neg_hi:[0,1]
	s_waitcnt vmcnt(0)
	v_pk_add_f32 v[100:101], v[100:101], v[80:81] op_sel_hi:[1,0] neg_lo:[0,1] neg_hi:[0,1]
	v_pk_mul_f32 v[18:19], v[18:19], v[18:19]
	s_nop 0
	v_pk_fma_f32 v[16:17], v[16:17], v[16:17], v[18:19]
	s_nop 0
	v_pk_fma_f32 v[16:17], v[100:101], v[100:101], v[16:17]
	s_nop 0
	v_cmp_gt_f32_e32 vcc, s39, v17
	v_mul_f32_e32 v18, 0x4f800000, v17
	s_nop 0
	v_cndmask_b32_e32 v17, v17, v18, vcc
	v_sqrt_f32_e32 v18, v17
	s_nop 0
	v_add_u32_e32 v19, -1, v18
	v_fma_f32 v81, -v19, v18, v17
	v_cmp_ge_f32_e64 s[0:1], 0, v81
	v_add_u32_e32 v81, 1, v18
	s_nop 0
	v_cndmask_b32_e64 v19, v18, v19, s[0:1]
	v_fma_f32 v18, -v81, v18, v17
	v_cmp_lt_f32_e64 s[0:1], 0, v18
	s_nop 1
	v_cndmask_b32_e64 v18, v19, v81, s[0:1]
	v_mul_f32_e32 v19, 0x37800000, v18
	v_cndmask_b32_e32 v18, v18, v19, vcc
	v_cmp_class_f32_e32 vcc, v17, v97
	s_nop 1
	v_cndmask_b32_e32 v17, v18, v17, vcc
	v_cmp_gt_f32_e32 vcc, s39, v16
	v_mul_f32_e32 v18, 0x4f800000, v16
	s_nop 0
	v_cndmask_b32_e32 v16, v16, v18, vcc
	v_sqrt_f32_e32 v18, v16
	s_nop 0
	v_add_u32_e32 v19, -1, v18
	v_fma_f32 v81, -v19, v18, v16
	v_cmp_ge_f32_e64 s[0:1], 0, v81
	v_add_u32_e32 v81, 1, v18
	s_nop 0
	v_cndmask_b32_e64 v19, v18, v19, s[0:1]
	v_fma_f32 v18, -v81, v18, v16
	v_cmp_lt_f32_e64 s[0:1], 0, v18
	s_nop 1
	v_cndmask_b32_e64 v18, v19, v81, s[0:1]
	v_mul_f32_e32 v19, 0x37800000, v18
	v_cndmask_b32_e32 v18, v18, v19, vcc
	v_cmp_class_f32_e32 vcc, v16, v97
	s_nop 1
	v_cndmask_b32_e32 v16, v18, v16, vcc
	v_pk_add_f32 v[18:19], v[16:17], v[98:99] op_sel_hi:[1,0] neg_lo:[0,1] neg_hi:[0,1]
	v_pk_fma_f32 v[16:17], v[96:97], v[16:17], 1.0 op_sel_hi:[0,1,0] neg_lo:[1,0,0] neg_hi:[1,0,0]
	v_cmp_gt_f32_e32 vcc, 0, v18
	v_cmp_gt_f32_e64 s[0:1], 0, v19
	v_cmp_lt_f32_e64 s[12:13], v18, v59
	v_cndmask_b32_e32 v100, 0, v113, vcc
	v_cndmask_b32_e64 v101, 0, v113, s[0:1]
	v_pk_fma_f32 v[0:1], v[16:17], v[100:101], v[0:1]
	v_pk_fma_f32 v[16:17], v[58:59], v[18:19], 1.0 op_sel_hi:[0,1,0] neg_lo:[1,0,0] neg_hi:[1,0,0]
	v_cmp_lt_f32_e64 s[16:17], v19, v59
	v_cndmask_b32_e64 v17, v17, 1.0, s[0:1]
	v_cndmask_b32_e64 v16, v16, 1.0, vcc
	v_cndmask_b32_e64 v101, 0, 1.0, s[16:17]
	v_cndmask_b32_e64 v100, 0, 1.0, s[12:13]
	v_pk_mul_f32 v[16:17], v[100:101], v[16:17]
	v_cmp_lt_f32_e64 s[12:13], v19, v99
	v_pk_mul_f32 v[16:17], v[94:95], v[16:17] op_sel_hi:[0,1]
	v_cmp_lt_f32_e64 s[16:17], v18, v99
	v_cndmask_b32_e64 v17, v17, -|v17|, s[34:35]
	v_cndmask_b32_e64 v16, v16, -|v16|, s[34:35]
	s_and_b64 s[16:17], s[10:11], s[16:17]
	s_and_b64 s[12:13], s[10:11], s[12:13]
	v_pk_fma_f32 v[0:1], v[16:17], s[28:29], v[0:1] op_sel_hi:[1,0,1]
	v_pk_fma_f32 v[16:17], v[68:69], v[18:19], 1.0 op_sel_hi:[0,1,0] neg_lo:[1,0,0] neg_hi:[1,0,0]
	v_cndmask_b32_e64 v19, 0, 1.0, s[12:13]
	v_cndmask_b32_e64 v18, 0, 1.0, s[16:17]
	v_pk_mul_f32 v[18:19], v[48:49], v[18:19] op_sel_hi:[0,1]
	v_cndmask_b32_e64 v17, v17, 1.0, s[0:1]
	v_cndmask_b32_e64 v16, v16, 1.0, vcc
	v_pk_fma_f32 v[0:1], v[16:17], v[18:19], v[0:1]
	scratch_load_dwordx2 v[16:17], off, off offset:3552 ; 8-byte Folded Reload
	scratch_load_dwordx2 v[18:19], off, off offset:3788 ; 8-byte Folded Reload
	s_waitcnt vmcnt(1)
	v_pk_add_f32 v[100:101], v[16:17], v[78:79] op_sel_hi:[1,0] neg_lo:[0,1] neg_hi:[0,1]
	scratch_load_dwordx2 v[16:17], off, off offset:3560 ; 8-byte Folded Reload
	s_waitcnt vmcnt(1)
	v_pk_add_f32 v[18:19], v[18:19], v[80:81] op_sel_hi:[1,0] neg_lo:[0,1] neg_hi:[0,1]
	s_waitcnt vmcnt(0)
	v_pk_add_f32 v[16:17], v[16:17], v[78:79] op_sel:[0,1] neg_lo:[0,1] neg_hi:[0,1]
	s_nop 0
	v_pk_mul_f32 v[16:17], v[16:17], v[16:17]
	s_nop 0
	v_pk_fma_f32 v[16:17], v[100:101], v[100:101], v[16:17]
	s_nop 0
	v_pk_fma_f32 v[16:17], v[18:19], v[18:19], v[16:17]
	s_nop 0
	v_cmp_gt_f32_e32 vcc, s39, v17
	v_mul_f32_e32 v18, 0x4f800000, v17
	s_nop 0
	v_cndmask_b32_e32 v17, v17, v18, vcc
	v_sqrt_f32_e32 v18, v17
	s_nop 0
	v_add_u32_e32 v19, -1, v18
	v_fma_f32 v81, -v19, v18, v17
	v_cmp_ge_f32_e64 s[0:1], 0, v81
	v_add_u32_e32 v81, 1, v18
	s_nop 0
	v_cndmask_b32_e64 v19, v18, v19, s[0:1]
	v_fma_f32 v18, -v81, v18, v17
	v_cmp_lt_f32_e64 s[0:1], 0, v18
	s_nop 1
	v_cndmask_b32_e64 v18, v19, v81, s[0:1]
	v_mul_f32_e32 v19, 0x37800000, v18
	v_cndmask_b32_e32 v18, v18, v19, vcc
	v_cmp_class_f32_e32 vcc, v17, v97
	s_nop 1
	v_cndmask_b32_e32 v101, v18, v17, vcc
	v_cmp_gt_f32_e32 vcc, s39, v16
	v_mul_f32_e32 v17, 0x4f800000, v16
	s_nop 0
	v_cndmask_b32_e32 v16, v16, v17, vcc
	v_sqrt_f32_e32 v17, v16
	s_nop 0
	v_add_u32_e32 v18, -1, v17
	v_fma_f32 v19, -v18, v17, v16
	v_cmp_ge_f32_e64 s[0:1], 0, v19
	v_add_u32_e32 v19, 1, v17
	s_nop 0
	v_cndmask_b32_e64 v18, v17, v18, s[0:1]
	v_fma_f32 v17, -v19, v17, v16
	v_cmp_lt_f32_e64 s[0:1], 0, v17
	s_nop 1
	v_cndmask_b32_e64 v17, v18, v19, s[0:1]
	v_mul_f32_e32 v18, 0x37800000, v17
	v_cndmask_b32_e32 v17, v17, v18, vcc
	v_cmp_class_f32_e32 vcc, v16, v97
	s_nop 1
	v_cndmask_b32_e32 v100, v17, v16, vcc
	v_pk_add_f32 v[16:17], v[100:101], v[98:99] op_sel_hi:[1,0] neg_lo:[0,1] neg_hi:[0,1]
	v_pk_fma_f32 v[18:19], v[96:97], v[100:101], 1.0 op_sel_hi:[0,1,0] neg_lo:[1,0,0] neg_hi:[1,0,0]
	v_cmp_gt_f32_e32 vcc, 0, v16
	v_cmp_gt_f32_e64 s[0:1], 0, v17
	v_cmp_lt_f32_e64 s[12:13], v16, v59
	v_cndmask_b32_e32 v100, 0, v113, vcc
	v_cndmask_b32_e64 v101, 0, v113, s[0:1]
	v_pk_fma_f32 v[2:3], v[18:19], v[100:101], v[2:3]
	v_pk_fma_f32 v[18:19], v[58:59], v[16:17], 1.0 op_sel_hi:[0,1,0] neg_lo:[1,0,0] neg_hi:[1,0,0]
	v_cmp_lt_f32_e64 s[16:17], v17, v59
	v_cndmask_b32_e64 v19, v19, 1.0, s[0:1]
	v_cndmask_b32_e64 v18, v18, 1.0, vcc
	v_cndmask_b32_e64 v101, 0, 1.0, s[16:17]
	v_cndmask_b32_e64 v100, 0, 1.0, s[12:13]
	v_pk_mul_f32 v[18:19], v[100:101], v[18:19]
	v_cmp_lt_f32_e64 s[12:13], v17, v99
	v_pk_mul_f32 v[18:19], v[94:95], v[18:19] op_sel_hi:[0,1]
	v_cmp_lt_f32_e64 s[16:17], v16, v99
	v_cndmask_b32_e64 v19, v19, -|v19|, s[34:35]
	v_cndmask_b32_e64 v18, v18, -|v18|, s[34:35]
	s_and_b64 s[16:17], s[10:11], s[16:17]
	s_and_b64 s[12:13], s[10:11], s[12:13]
	v_pk_fma_f32 v[2:3], v[18:19], s[28:29], v[2:3] op_sel_hi:[1,0,1]
	v_pk_fma_f32 v[18:19], v[68:69], v[16:17], 1.0 op_sel_hi:[0,1,0] neg_lo:[1,0,0] neg_hi:[1,0,0]
	v_cndmask_b32_e64 v17, 0, 1.0, s[12:13]
	v_cndmask_b32_e64 v16, 0, 1.0, s[16:17]
	v_pk_mul_f32 v[16:17], v[48:49], v[16:17] op_sel_hi:[0,1]
	v_cndmask_b32_e64 v19, v19, 1.0, s[0:1]
	v_cndmask_b32_e64 v18, v18, 1.0, vcc
	v_pk_fma_f32 v[2:3], v[18:19], v[16:17], v[2:3]
	scratch_load_dwordx2 v[16:17], off, off offset:3572 ; 8-byte Folded Reload
	scratch_load_dwordx2 v[18:19], off, off offset:3584 ; 8-byte Folded Reload
	;; [unrolled: 1-line block ×3, first 2 shown]
	s_waitcnt vmcnt(2)
	v_pk_add_f32 v[16:17], v[16:17], v[78:79] op_sel_hi:[1,0] neg_lo:[0,1] neg_hi:[0,1]
	s_waitcnt vmcnt(1)
	v_pk_add_f32 v[18:19], v[18:19], v[78:79] op_sel:[0,1] neg_lo:[0,1] neg_hi:[0,1]
	s_waitcnt vmcnt(0)
	v_pk_add_f32 v[100:101], v[100:101], v[80:81] op_sel_hi:[1,0] neg_lo:[0,1] neg_hi:[0,1]
	v_pk_mul_f32 v[18:19], v[18:19], v[18:19]
	s_nop 0
	v_pk_fma_f32 v[16:17], v[16:17], v[16:17], v[18:19]
	s_nop 0
	v_pk_fma_f32 v[16:17], v[100:101], v[100:101], v[16:17]
	s_nop 0
	v_cmp_gt_f32_e32 vcc, s39, v17
	v_mul_f32_e32 v18, 0x4f800000, v17
	s_nop 0
	v_cndmask_b32_e32 v17, v17, v18, vcc
	v_sqrt_f32_e32 v18, v17
	s_nop 0
	v_add_u32_e32 v19, -1, v18
	v_fma_f32 v81, -v19, v18, v17
	v_cmp_ge_f32_e64 s[0:1], 0, v81
	v_add_u32_e32 v81, 1, v18
	s_nop 0
	v_cndmask_b32_e64 v19, v18, v19, s[0:1]
	v_fma_f32 v18, -v81, v18, v17
	v_cmp_lt_f32_e64 s[0:1], 0, v18
	s_nop 1
	v_cndmask_b32_e64 v18, v19, v81, s[0:1]
	v_mul_f32_e32 v19, 0x37800000, v18
	v_cndmask_b32_e32 v18, v18, v19, vcc
	v_cmp_class_f32_e32 vcc, v17, v97
	s_nop 1
	v_cndmask_b32_e32 v17, v18, v17, vcc
	v_cmp_gt_f32_e32 vcc, s39, v16
	v_mul_f32_e32 v18, 0x4f800000, v16
	s_nop 0
	v_cndmask_b32_e32 v16, v16, v18, vcc
	v_sqrt_f32_e32 v18, v16
	s_nop 0
	v_add_u32_e32 v19, -1, v18
	v_fma_f32 v81, -v19, v18, v16
	v_cmp_ge_f32_e64 s[0:1], 0, v81
	v_add_u32_e32 v81, 1, v18
	s_nop 0
	v_cndmask_b32_e64 v19, v18, v19, s[0:1]
	v_fma_f32 v18, -v81, v18, v16
	v_cmp_lt_f32_e64 s[0:1], 0, v18
	s_nop 1
	v_cndmask_b32_e64 v18, v19, v81, s[0:1]
	v_mul_f32_e32 v19, 0x37800000, v18
	v_cndmask_b32_e32 v18, v18, v19, vcc
	v_cmp_class_f32_e32 vcc, v16, v97
	s_nop 1
	v_cndmask_b32_e32 v16, v18, v16, vcc
	v_pk_add_f32 v[18:19], v[16:17], v[98:99] op_sel_hi:[1,0] neg_lo:[0,1] neg_hi:[0,1]
	v_pk_fma_f32 v[16:17], v[96:97], v[16:17], 1.0 op_sel_hi:[0,1,0] neg_lo:[1,0,0] neg_hi:[1,0,0]
	v_cmp_gt_f32_e32 vcc, 0, v18
	v_cmp_gt_f32_e64 s[0:1], 0, v19
	v_cmp_lt_f32_e64 s[12:13], v18, v59
	v_cndmask_b32_e32 v100, 0, v113, vcc
	v_cndmask_b32_e64 v101, 0, v113, s[0:1]
	v_pk_fma_f32 v[16:17], v[16:17], v[100:101], v[52:53]
	v_pk_fma_f32 v[52:53], v[58:59], v[18:19], 1.0 op_sel_hi:[0,1,0] neg_lo:[1,0,0] neg_hi:[1,0,0]
	v_cmp_lt_f32_e64 s[16:17], v19, v59
	v_cndmask_b32_e64 v53, v53, 1.0, s[0:1]
	v_cndmask_b32_e64 v52, v52, 1.0, vcc
	v_cndmask_b32_e64 v101, 0, 1.0, s[16:17]
	v_cndmask_b32_e64 v100, 0, 1.0, s[12:13]
	v_pk_mul_f32 v[52:53], v[100:101], v[52:53]
	v_cmp_lt_f32_e64 s[12:13], v19, v99
	v_pk_mul_f32 v[52:53], v[94:95], v[52:53] op_sel_hi:[0,1]
	v_cmp_lt_f32_e64 s[16:17], v18, v99
	v_cndmask_b32_e64 v53, v53, -|v53|, s[34:35]
	v_cndmask_b32_e64 v52, v52, -|v52|, s[34:35]
	s_and_b64 s[16:17], s[10:11], s[16:17]
	s_and_b64 s[12:13], s[10:11], s[12:13]
	v_pk_fma_f32 v[16:17], v[52:53], s[28:29], v[16:17] op_sel_hi:[1,0,1]
	v_pk_fma_f32 v[52:53], v[68:69], v[18:19], 1.0 op_sel_hi:[0,1,0] neg_lo:[1,0,0] neg_hi:[1,0,0]
	v_cndmask_b32_e64 v19, 0, 1.0, s[12:13]
	v_cndmask_b32_e64 v18, 0, 1.0, s[16:17]
	v_pk_mul_f32 v[18:19], v[48:49], v[18:19] op_sel_hi:[0,1]
	v_cndmask_b32_e64 v53, v53, 1.0, s[0:1]
	v_cndmask_b32_e64 v52, v52, 1.0, vcc
	v_pk_fma_f32 v[52:53], v[52:53], v[18:19], v[16:17]
	scratch_load_dwordx2 v[16:17], off, off offset:3592 ; 8-byte Folded Reload
	scratch_load_dwordx2 v[18:19], off, off offset:3804 ; 8-byte Folded Reload
	s_waitcnt vmcnt(1)
	v_pk_add_f32 v[100:101], v[16:17], v[78:79] op_sel_hi:[1,0] neg_lo:[0,1] neg_hi:[0,1]
	scratch_load_dwordx2 v[16:17], off, off offset:3600 ; 8-byte Folded Reload
	s_waitcnt vmcnt(1)
	v_pk_add_f32 v[18:19], v[18:19], v[80:81] op_sel_hi:[1,0] neg_lo:[0,1] neg_hi:[0,1]
	s_waitcnt vmcnt(0)
	v_pk_add_f32 v[16:17], v[16:17], v[78:79] op_sel:[0,1] neg_lo:[0,1] neg_hi:[0,1]
	s_nop 0
	v_pk_mul_f32 v[16:17], v[16:17], v[16:17]
	s_nop 0
	v_pk_fma_f32 v[16:17], v[100:101], v[100:101], v[16:17]
	s_nop 0
	v_pk_fma_f32 v[16:17], v[18:19], v[18:19], v[16:17]
	s_nop 0
	v_cmp_gt_f32_e32 vcc, s39, v17
	v_mul_f32_e32 v18, 0x4f800000, v17
	s_nop 0
	v_cndmask_b32_e32 v17, v17, v18, vcc
	v_sqrt_f32_e32 v18, v17
	s_nop 0
	v_add_u32_e32 v19, -1, v18
	v_fma_f32 v81, -v19, v18, v17
	v_cmp_ge_f32_e64 s[0:1], 0, v81
	v_add_u32_e32 v81, 1, v18
	s_nop 0
	v_cndmask_b32_e64 v19, v18, v19, s[0:1]
	v_fma_f32 v18, -v81, v18, v17
	v_cmp_lt_f32_e64 s[0:1], 0, v18
	s_nop 1
	v_cndmask_b32_e64 v18, v19, v81, s[0:1]
	v_mul_f32_e32 v19, 0x37800000, v18
	v_cndmask_b32_e32 v18, v18, v19, vcc
	v_cmp_class_f32_e32 vcc, v17, v97
	s_nop 1
	v_cndmask_b32_e32 v101, v18, v17, vcc
	v_cmp_gt_f32_e32 vcc, s39, v16
	v_mul_f32_e32 v17, 0x4f800000, v16
	s_nop 0
	v_cndmask_b32_e32 v16, v16, v17, vcc
	v_sqrt_f32_e32 v17, v16
	s_nop 0
	v_add_u32_e32 v18, -1, v17
	v_fma_f32 v19, -v18, v17, v16
	v_cmp_ge_f32_e64 s[0:1], 0, v19
	v_add_u32_e32 v19, 1, v17
	s_nop 0
	v_cndmask_b32_e64 v18, v17, v18, s[0:1]
	v_fma_f32 v17, -v19, v17, v16
	v_cmp_lt_f32_e64 s[0:1], 0, v17
	s_nop 1
	v_cndmask_b32_e64 v17, v18, v19, s[0:1]
	v_mul_f32_e32 v18, 0x37800000, v17
	v_cndmask_b32_e32 v17, v17, v18, vcc
	v_cmp_class_f32_e32 vcc, v16, v97
	s_nop 1
	v_cndmask_b32_e32 v100, v17, v16, vcc
	v_pk_add_f32 v[16:17], v[100:101], v[98:99] op_sel_hi:[1,0] neg_lo:[0,1] neg_hi:[0,1]
	v_pk_fma_f32 v[18:19], v[96:97], v[100:101], 1.0 op_sel_hi:[0,1,0] neg_lo:[1,0,0] neg_hi:[1,0,0]
	v_cmp_gt_f32_e32 vcc, 0, v16
	v_cmp_gt_f32_e64 s[0:1], 0, v17
	v_cmp_lt_f32_e64 s[12:13], v16, v59
	v_cndmask_b32_e32 v100, 0, v113, vcc
	v_cndmask_b32_e64 v101, 0, v113, s[0:1]
	v_pk_fma_f32 v[18:19], v[18:19], v[100:101], v[54:55]
	v_pk_fma_f32 v[54:55], v[58:59], v[16:17], 1.0 op_sel_hi:[0,1,0] neg_lo:[1,0,0] neg_hi:[1,0,0]
	v_cmp_lt_f32_e64 s[16:17], v17, v59
	v_cndmask_b32_e64 v55, v55, 1.0, s[0:1]
	v_cndmask_b32_e64 v54, v54, 1.0, vcc
	v_cndmask_b32_e64 v101, 0, 1.0, s[16:17]
	v_cndmask_b32_e64 v100, 0, 1.0, s[12:13]
	v_pk_mul_f32 v[54:55], v[100:101], v[54:55]
	v_cmp_lt_f32_e64 s[12:13], v17, v99
	v_pk_mul_f32 v[54:55], v[94:95], v[54:55] op_sel_hi:[0,1]
	v_cmp_lt_f32_e64 s[16:17], v16, v99
	v_cndmask_b32_e64 v55, v55, -|v55|, s[34:35]
	v_cndmask_b32_e64 v54, v54, -|v54|, s[34:35]
	s_and_b64 s[16:17], s[10:11], s[16:17]
	s_and_b64 s[12:13], s[10:11], s[12:13]
	v_pk_fma_f32 v[18:19], v[54:55], s[28:29], v[18:19] op_sel_hi:[1,0,1]
	v_pk_fma_f32 v[54:55], v[68:69], v[16:17], 1.0 op_sel_hi:[0,1,0] neg_lo:[1,0,0] neg_hi:[1,0,0]
	v_cndmask_b32_e64 v17, 0, 1.0, s[12:13]
	v_cndmask_b32_e64 v16, 0, 1.0, s[16:17]
	v_pk_mul_f32 v[16:17], v[48:49], v[16:17] op_sel_hi:[0,1]
	v_cndmask_b32_e64 v55, v55, 1.0, s[0:1]
	v_cndmask_b32_e64 v54, v54, 1.0, vcc
	v_pk_fma_f32 v[54:55], v[54:55], v[16:17], v[18:19]
	scratch_load_dwordx2 v[16:17], off, off offset:3608 ; 8-byte Folded Reload
	scratch_load_dwordx2 v[18:19], off, off offset:3620 ; 8-byte Folded Reload
	;; [unrolled: 1-line block ×3, first 2 shown]
	s_waitcnt vmcnt(2)
	v_pk_add_f32 v[16:17], v[16:17], v[78:79] op_sel_hi:[1,0] neg_lo:[0,1] neg_hi:[0,1]
	s_waitcnt vmcnt(1)
	v_pk_add_f32 v[18:19], v[18:19], v[78:79] op_sel:[0,1] neg_lo:[0,1] neg_hi:[0,1]
	s_waitcnt vmcnt(0)
	v_pk_add_f32 v[100:101], v[100:101], v[80:81] op_sel_hi:[1,0] neg_lo:[0,1] neg_hi:[0,1]
	v_pk_mul_f32 v[18:19], v[18:19], v[18:19]
	s_nop 0
	v_pk_fma_f32 v[16:17], v[16:17], v[16:17], v[18:19]
	s_nop 0
	v_pk_fma_f32 v[16:17], v[100:101], v[100:101], v[16:17]
	s_nop 0
	v_cmp_gt_f32_e32 vcc, s39, v17
	v_mul_f32_e32 v18, 0x4f800000, v17
	s_nop 0
	v_cndmask_b32_e32 v17, v17, v18, vcc
	v_sqrt_f32_e32 v18, v17
	s_nop 0
	v_add_u32_e32 v19, -1, v18
	v_fma_f32 v81, -v19, v18, v17
	v_cmp_ge_f32_e64 s[0:1], 0, v81
	v_add_u32_e32 v81, 1, v18
	s_nop 0
	v_cndmask_b32_e64 v19, v18, v19, s[0:1]
	v_fma_f32 v18, -v81, v18, v17
	v_cmp_lt_f32_e64 s[0:1], 0, v18
	s_nop 1
	v_cndmask_b32_e64 v18, v19, v81, s[0:1]
	v_mul_f32_e32 v19, 0x37800000, v18
	v_cndmask_b32_e32 v18, v18, v19, vcc
	v_cmp_class_f32_e32 vcc, v17, v97
	s_nop 1
	v_cndmask_b32_e32 v17, v18, v17, vcc
	v_cmp_gt_f32_e32 vcc, s39, v16
	v_mul_f32_e32 v18, 0x4f800000, v16
	s_nop 0
	v_cndmask_b32_e32 v16, v16, v18, vcc
	v_sqrt_f32_e32 v18, v16
	s_nop 0
	v_add_u32_e32 v19, -1, v18
	v_fma_f32 v81, -v19, v18, v16
	v_cmp_ge_f32_e64 s[0:1], 0, v81
	v_add_u32_e32 v81, 1, v18
	s_nop 0
	v_cndmask_b32_e64 v19, v18, v19, s[0:1]
	v_fma_f32 v18, -v81, v18, v16
	v_cmp_lt_f32_e64 s[0:1], 0, v18
	s_nop 1
	v_cndmask_b32_e64 v18, v19, v81, s[0:1]
	v_mul_f32_e32 v19, 0x37800000, v18
	v_cndmask_b32_e32 v18, v18, v19, vcc
	v_cmp_class_f32_e32 vcc, v16, v97
	s_nop 1
	v_cndmask_b32_e32 v16, v18, v16, vcc
	v_pk_add_f32 v[18:19], v[16:17], v[98:99] op_sel_hi:[1,0] neg_lo:[0,1] neg_hi:[0,1]
	v_pk_fma_f32 v[16:17], v[96:97], v[16:17], 1.0 op_sel_hi:[0,1,0] neg_lo:[1,0,0] neg_hi:[1,0,0]
	v_cmp_gt_f32_e32 vcc, 0, v18
	v_cmp_gt_f32_e64 s[0:1], 0, v19
	v_cmp_lt_f32_e64 s[12:13], v18, v59
	v_cndmask_b32_e32 v100, 0, v113, vcc
	v_cndmask_b32_e64 v101, 0, v113, s[0:1]
	v_pk_fma_f32 v[16:17], v[16:17], v[100:101], v[74:75]
	v_pk_fma_f32 v[74:75], v[58:59], v[18:19], 1.0 op_sel_hi:[0,1,0] neg_lo:[1,0,0] neg_hi:[1,0,0]
	v_cmp_lt_f32_e64 s[16:17], v19, v59
	v_cndmask_b32_e64 v75, v75, 1.0, s[0:1]
	v_cndmask_b32_e64 v74, v74, 1.0, vcc
	v_cndmask_b32_e64 v101, 0, 1.0, s[16:17]
	v_cndmask_b32_e64 v100, 0, 1.0, s[12:13]
	v_pk_mul_f32 v[74:75], v[100:101], v[74:75]
	v_cmp_lt_f32_e64 s[12:13], v19, v99
	v_pk_mul_f32 v[74:75], v[94:95], v[74:75] op_sel_hi:[0,1]
	v_cmp_lt_f32_e64 s[16:17], v18, v99
	v_cndmask_b32_e64 v75, v75, -|v75|, s[34:35]
	v_cndmask_b32_e64 v74, v74, -|v74|, s[34:35]
	s_and_b64 s[16:17], s[10:11], s[16:17]
	s_and_b64 s[12:13], s[10:11], s[12:13]
	v_pk_fma_f32 v[16:17], v[74:75], s[28:29], v[16:17] op_sel_hi:[1,0,1]
	v_pk_fma_f32 v[74:75], v[68:69], v[18:19], 1.0 op_sel_hi:[0,1,0] neg_lo:[1,0,0] neg_hi:[1,0,0]
	v_cndmask_b32_e64 v19, 0, 1.0, s[12:13]
	v_cndmask_b32_e64 v18, 0, 1.0, s[16:17]
	v_pk_mul_f32 v[18:19], v[48:49], v[18:19] op_sel_hi:[0,1]
	v_cndmask_b32_e64 v75, v75, 1.0, s[0:1]
	v_cndmask_b32_e64 v74, v74, 1.0, vcc
	v_pk_fma_f32 v[74:75], v[74:75], v[18:19], v[16:17]
	scratch_load_dwordx2 v[16:17], off, off offset:3632 ; 8-byte Folded Reload
	scratch_load_dwordx2 v[18:19], off, off offset:3820 ; 8-byte Folded Reload
	s_waitcnt vmcnt(1)
	v_pk_add_f32 v[100:101], v[16:17], v[78:79] op_sel_hi:[1,0] neg_lo:[0,1] neg_hi:[0,1]
	scratch_load_dwordx2 v[16:17], off, off offset:3640 ; 8-byte Folded Reload
	s_waitcnt vmcnt(1)
	v_pk_add_f32 v[18:19], v[18:19], v[80:81] op_sel_hi:[1,0] neg_lo:[0,1] neg_hi:[0,1]
	s_waitcnt vmcnt(0)
	v_pk_add_f32 v[16:17], v[16:17], v[78:79] op_sel:[0,1] neg_lo:[0,1] neg_hi:[0,1]
	s_nop 0
	v_pk_mul_f32 v[16:17], v[16:17], v[16:17]
	s_nop 0
	v_pk_fma_f32 v[16:17], v[100:101], v[100:101], v[16:17]
	s_nop 0
	v_pk_fma_f32 v[16:17], v[18:19], v[18:19], v[16:17]
	s_nop 0
	v_cmp_gt_f32_e32 vcc, s39, v17
	v_mul_f32_e32 v18, 0x4f800000, v17
	s_nop 0
	v_cndmask_b32_e32 v17, v17, v18, vcc
	v_sqrt_f32_e32 v18, v17
	s_nop 0
	v_add_u32_e32 v19, -1, v18
	v_fma_f32 v81, -v19, v18, v17
	v_cmp_ge_f32_e64 s[0:1], 0, v81
	v_add_u32_e32 v81, 1, v18
	s_nop 0
	v_cndmask_b32_e64 v19, v18, v19, s[0:1]
	v_fma_f32 v18, -v81, v18, v17
	v_cmp_lt_f32_e64 s[0:1], 0, v18
	s_nop 1
	v_cndmask_b32_e64 v18, v19, v81, s[0:1]
	v_mul_f32_e32 v19, 0x37800000, v18
	v_cndmask_b32_e32 v18, v18, v19, vcc
	v_cmp_class_f32_e32 vcc, v17, v97
	s_nop 1
	v_cndmask_b32_e32 v101, v18, v17, vcc
	v_cmp_gt_f32_e32 vcc, s39, v16
	v_mul_f32_e32 v17, 0x4f800000, v16
	s_nop 0
	v_cndmask_b32_e32 v16, v16, v17, vcc
	v_sqrt_f32_e32 v17, v16
	s_nop 0
	v_add_u32_e32 v18, -1, v17
	v_fma_f32 v19, -v18, v17, v16
	v_cmp_ge_f32_e64 s[0:1], 0, v19
	v_add_u32_e32 v19, 1, v17
	s_nop 0
	v_cndmask_b32_e64 v18, v17, v18, s[0:1]
	v_fma_f32 v17, -v19, v17, v16
	v_cmp_lt_f32_e64 s[0:1], 0, v17
	s_nop 1
	v_cndmask_b32_e64 v17, v18, v19, s[0:1]
	v_mul_f32_e32 v18, 0x37800000, v17
	v_cndmask_b32_e32 v17, v17, v18, vcc
	v_cmp_class_f32_e32 vcc, v16, v97
	s_nop 1
	v_cndmask_b32_e32 v100, v17, v16, vcc
	v_pk_add_f32 v[16:17], v[100:101], v[98:99] op_sel_hi:[1,0] neg_lo:[0,1] neg_hi:[0,1]
	v_pk_fma_f32 v[18:19], v[96:97], v[100:101], 1.0 op_sel_hi:[0,1,0] neg_lo:[1,0,0] neg_hi:[1,0,0]
	v_cmp_gt_f32_e32 vcc, 0, v16
	v_cmp_gt_f32_e64 s[0:1], 0, v17
	v_cmp_lt_f32_e64 s[12:13], v16, v59
	v_cndmask_b32_e32 v100, 0, v113, vcc
	v_cndmask_b32_e64 v101, 0, v113, s[0:1]
	v_pk_fma_f32 v[18:19], v[18:19], v[100:101], v[76:77]
	v_pk_fma_f32 v[76:77], v[58:59], v[16:17], 1.0 op_sel_hi:[0,1,0] neg_lo:[1,0,0] neg_hi:[1,0,0]
	v_cmp_lt_f32_e64 s[16:17], v17, v59
	v_cndmask_b32_e64 v77, v77, 1.0, s[0:1]
	v_cndmask_b32_e64 v76, v76, 1.0, vcc
	v_cndmask_b32_e64 v101, 0, 1.0, s[16:17]
	v_cndmask_b32_e64 v100, 0, 1.0, s[12:13]
	v_pk_mul_f32 v[76:77], v[100:101], v[76:77]
	v_cmp_lt_f32_e64 s[12:13], v17, v99
	v_pk_mul_f32 v[76:77], v[94:95], v[76:77] op_sel_hi:[0,1]
	v_cmp_lt_f32_e64 s[16:17], v16, v99
	v_cndmask_b32_e64 v77, v77, -|v77|, s[34:35]
	v_cndmask_b32_e64 v76, v76, -|v76|, s[34:35]
	s_and_b64 s[16:17], s[10:11], s[16:17]
	s_and_b64 s[12:13], s[10:11], s[12:13]
	v_pk_fma_f32 v[18:19], v[76:77], s[28:29], v[18:19] op_sel_hi:[1,0,1]
	v_pk_fma_f32 v[76:77], v[68:69], v[16:17], 1.0 op_sel_hi:[0,1,0] neg_lo:[1,0,0] neg_hi:[1,0,0]
	v_cndmask_b32_e64 v17, 0, 1.0, s[12:13]
	v_cndmask_b32_e64 v16, 0, 1.0, s[16:17]
	v_pk_mul_f32 v[16:17], v[48:49], v[16:17] op_sel_hi:[0,1]
	v_cndmask_b32_e64 v77, v77, 1.0, s[0:1]
	v_cndmask_b32_e64 v76, v76, 1.0, vcc
	v_pk_fma_f32 v[76:77], v[76:77], v[16:17], v[18:19]
	scratch_load_dwordx2 v[16:17], off, off offset:3648 ; 8-byte Folded Reload
	scratch_load_dwordx2 v[18:19], off, off offset:3660 ; 8-byte Folded Reload
	;; [unrolled: 1-line block ×3, first 2 shown]
	s_waitcnt vmcnt(2)
	v_pk_add_f32 v[16:17], v[16:17], v[78:79] op_sel_hi:[1,0] neg_lo:[0,1] neg_hi:[0,1]
	s_waitcnt vmcnt(1)
	v_pk_add_f32 v[18:19], v[18:19], v[78:79] op_sel:[0,1] neg_lo:[0,1] neg_hi:[0,1]
	s_waitcnt vmcnt(0)
	v_pk_add_f32 v[100:101], v[100:101], v[80:81] op_sel_hi:[1,0] neg_lo:[0,1] neg_hi:[0,1]
	v_pk_mul_f32 v[18:19], v[18:19], v[18:19]
	s_nop 0
	v_pk_fma_f32 v[16:17], v[16:17], v[16:17], v[18:19]
	s_nop 0
	v_pk_fma_f32 v[16:17], v[100:101], v[100:101], v[16:17]
	s_nop 0
	v_cmp_gt_f32_e32 vcc, s39, v17
	v_mul_f32_e32 v18, 0x4f800000, v17
	s_nop 0
	v_cndmask_b32_e32 v17, v17, v18, vcc
	v_sqrt_f32_e32 v18, v17
	s_nop 0
	v_add_u32_e32 v19, -1, v18
	v_fma_f32 v81, -v19, v18, v17
	v_cmp_ge_f32_e64 s[0:1], 0, v81
	v_add_u32_e32 v81, 1, v18
	s_nop 0
	v_cndmask_b32_e64 v19, v18, v19, s[0:1]
	v_fma_f32 v18, -v81, v18, v17
	v_cmp_lt_f32_e64 s[0:1], 0, v18
	s_nop 1
	v_cndmask_b32_e64 v18, v19, v81, s[0:1]
	v_mul_f32_e32 v19, 0x37800000, v18
	v_cndmask_b32_e32 v18, v18, v19, vcc
	v_cmp_class_f32_e32 vcc, v17, v97
	s_nop 1
	v_cndmask_b32_e32 v17, v18, v17, vcc
	v_cmp_gt_f32_e32 vcc, s39, v16
	v_mul_f32_e32 v18, 0x4f800000, v16
	s_nop 0
	v_cndmask_b32_e32 v16, v16, v18, vcc
	v_sqrt_f32_e32 v18, v16
	s_nop 0
	v_add_u32_e32 v19, -1, v18
	v_fma_f32 v81, -v19, v18, v16
	v_cmp_ge_f32_e64 s[0:1], 0, v81
	v_add_u32_e32 v81, 1, v18
	s_nop 0
	v_cndmask_b32_e64 v19, v18, v19, s[0:1]
	v_fma_f32 v18, -v81, v18, v16
	v_cmp_lt_f32_e64 s[0:1], 0, v18
	s_nop 1
	v_cndmask_b32_e64 v18, v19, v81, s[0:1]
	v_mul_f32_e32 v19, 0x37800000, v18
	v_cndmask_b32_e32 v18, v18, v19, vcc
	v_cmp_class_f32_e32 vcc, v16, v97
	s_nop 1
	v_cndmask_b32_e32 v16, v18, v16, vcc
	v_pk_add_f32 v[18:19], v[16:17], v[98:99] op_sel_hi:[1,0] neg_lo:[0,1] neg_hi:[0,1]
	v_pk_fma_f32 v[16:17], v[96:97], v[16:17], 1.0 op_sel_hi:[0,1,0] neg_lo:[1,0,0] neg_hi:[1,0,0]
	v_cmp_gt_f32_e32 vcc, 0, v18
	v_cmp_gt_f32_e64 s[0:1], 0, v19
	v_cmp_lt_f32_e64 s[12:13], v18, v59
	v_cndmask_b32_e32 v100, 0, v113, vcc
	v_cndmask_b32_e64 v101, 0, v113, s[0:1]
	v_pk_fma_f32 v[16:17], v[16:17], v[100:101], v[70:71]
	v_pk_fma_f32 v[70:71], v[58:59], v[18:19], 1.0 op_sel_hi:[0,1,0] neg_lo:[1,0,0] neg_hi:[1,0,0]
	v_cmp_lt_f32_e64 s[16:17], v19, v59
	v_cndmask_b32_e64 v71, v71, 1.0, s[0:1]
	v_cndmask_b32_e64 v70, v70, 1.0, vcc
	v_cndmask_b32_e64 v101, 0, 1.0, s[16:17]
	v_cndmask_b32_e64 v100, 0, 1.0, s[12:13]
	v_pk_mul_f32 v[70:71], v[100:101], v[70:71]
	v_cmp_lt_f32_e64 s[12:13], v19, v99
	v_pk_mul_f32 v[70:71], v[94:95], v[70:71] op_sel_hi:[0,1]
	v_cmp_lt_f32_e64 s[16:17], v18, v99
	v_cndmask_b32_e64 v71, v71, -|v71|, s[34:35]
	v_cndmask_b32_e64 v70, v70, -|v70|, s[34:35]
	s_and_b64 s[16:17], s[10:11], s[16:17]
	s_and_b64 s[12:13], s[10:11], s[12:13]
	v_pk_fma_f32 v[16:17], v[70:71], s[28:29], v[16:17] op_sel_hi:[1,0,1]
	v_pk_fma_f32 v[70:71], v[68:69], v[18:19], 1.0 op_sel_hi:[0,1,0] neg_lo:[1,0,0] neg_hi:[1,0,0]
	v_cndmask_b32_e64 v19, 0, 1.0, s[12:13]
	v_cndmask_b32_e64 v18, 0, 1.0, s[16:17]
	v_pk_mul_f32 v[18:19], v[48:49], v[18:19] op_sel_hi:[0,1]
	v_cndmask_b32_e64 v71, v71, 1.0, s[0:1]
	v_cndmask_b32_e64 v70, v70, 1.0, vcc
	v_pk_fma_f32 v[70:71], v[70:71], v[18:19], v[16:17]
	scratch_load_dwordx2 v[16:17], off, off offset:3672 ; 8-byte Folded Reload
	scratch_load_dwordx2 v[18:19], off, off offset:3680 ; 8-byte Folded Reload
	s_waitcnt vmcnt(1)
	v_pk_add_f32 v[16:17], v[16:17], v[78:79] op_sel_hi:[1,0] neg_lo:[0,1] neg_hi:[0,1]
	s_waitcnt vmcnt(0)
	v_pk_add_f32 v[18:19], v[18:19], v[78:79] op_sel:[0,1] neg_lo:[0,1] neg_hi:[0,1]
	scratch_load_dwordx2 v[78:79], off, off offset:3836 ; 8-byte Folded Reload
	v_pk_mul_f32 v[18:19], v[18:19], v[18:19]
	s_waitcnt vmcnt(0)
	v_pk_add_f32 v[78:79], v[78:79], v[80:81] op_sel_hi:[1,0] neg_lo:[0,1] neg_hi:[0,1]
	v_pk_fma_f32 v[16:17], v[16:17], v[16:17], v[18:19]
	s_nop 0
	v_pk_fma_f32 v[16:17], v[78:79], v[78:79], v[16:17]
	s_nop 0
	v_cmp_gt_f32_e32 vcc, s39, v17
	v_mul_f32_e32 v18, 0x4f800000, v17
	s_nop 0
	v_cndmask_b32_e32 v17, v17, v18, vcc
	v_sqrt_f32_e32 v18, v17
	s_nop 0
	v_add_u32_e32 v19, -1, v18
	v_fma_f32 v78, -v19, v18, v17
	v_cmp_ge_f32_e64 s[0:1], 0, v78
	v_add_u32_e32 v78, 1, v18
	s_nop 0
	v_cndmask_b32_e64 v19, v18, v19, s[0:1]
	v_fma_f32 v18, -v78, v18, v17
	v_cmp_lt_f32_e64 s[0:1], 0, v18
	s_nop 1
	v_cndmask_b32_e64 v18, v19, v78, s[0:1]
	v_mul_f32_e32 v19, 0x37800000, v18
	v_cndmask_b32_e32 v18, v18, v19, vcc
	v_cmp_class_f32_e32 vcc, v17, v97
	s_nop 1
	v_cndmask_b32_e32 v81, v18, v17, vcc
	v_cmp_gt_f32_e32 vcc, s39, v16
	v_mul_f32_e32 v17, 0x4f800000, v16
	s_nop 0
	v_cndmask_b32_e32 v16, v16, v17, vcc
	v_sqrt_f32_e32 v17, v16
	s_nop 0
	v_add_u32_e32 v18, -1, v17
	v_fma_f32 v19, -v18, v17, v16
	v_cmp_ge_f32_e64 s[0:1], 0, v19
	v_add_u32_e32 v19, 1, v17
	s_nop 0
	v_cndmask_b32_e64 v18, v17, v18, s[0:1]
	v_fma_f32 v17, -v19, v17, v16
	v_cmp_lt_f32_e64 s[0:1], 0, v17
	s_nop 1
	v_cndmask_b32_e64 v17, v18, v19, s[0:1]
	v_mul_f32_e32 v18, 0x37800000, v17
	v_cndmask_b32_e32 v17, v17, v18, vcc
	v_cmp_class_f32_e32 vcc, v16, v97
	s_nop 1
	v_cndmask_b32_e32 v80, v17, v16, vcc
	v_pk_add_f32 v[78:79], v[80:81], v[98:99] op_sel_hi:[1,0] neg_lo:[0,1] neg_hi:[0,1]
	v_pk_fma_f32 v[16:17], v[96:97], v[80:81], 1.0 op_sel_hi:[0,1,0] neg_lo:[1,0,0] neg_hi:[1,0,0]
	v_cmp_gt_f32_e32 vcc, 0, v78
	v_cmp_gt_f32_e64 s[12:13], 0, v79
	v_cmp_lt_f32_e64 s[0:1], v78, v59
	v_cndmask_b32_e32 v18, 0, v113, vcc
	v_cndmask_b32_e64 v19, 0, v113, s[12:13]
	v_pk_fma_f32 v[72:73], v[16:17], v[18:19], v[72:73]
	v_pk_fma_f32 v[16:17], v[58:59], v[78:79], 1.0 op_sel_hi:[0,1,0] neg_lo:[1,0,0] neg_hi:[1,0,0]
	v_cmp_lt_f32_e64 s[16:17], v79, v59
	v_cndmask_b32_e64 v17, v17, 1.0, s[12:13]
	v_cndmask_b32_e64 v16, v16, 1.0, vcc
	v_cndmask_b32_e64 v19, 0, 1.0, s[16:17]
	v_cndmask_b32_e64 v18, 0, 1.0, s[0:1]
	v_pk_mul_f32 v[16:17], v[18:19], v[16:17]
	v_cmp_lt_f32_e64 s[0:1], v79, v99
	v_pk_mul_f32 v[16:17], v[94:95], v[16:17] op_sel_hi:[0,1]
	v_cmp_lt_f32_e64 s[16:17], v78, v99
	v_cndmask_b32_e64 v17, v17, -|v17|, s[34:35]
	v_cndmask_b32_e64 v16, v16, -|v16|, s[34:35]
	s_and_b64 s[16:17], s[10:11], s[16:17]
	s_and_b64 s[0:1], s[10:11], s[0:1]
	v_pk_fma_f32 v[58:59], v[16:17], s[28:29], v[72:73] op_sel_hi:[1,0,1]
	v_pk_fma_f32 v[16:17], v[68:69], v[78:79], 1.0 op_sel_hi:[0,1,0] neg_lo:[1,0,0] neg_hi:[1,0,0]
	v_cndmask_b32_e64 v19, 0, 1.0, s[0:1]
	v_cndmask_b32_e64 v18, 0, 1.0, s[16:17]
	s_add_u32 s30, s30, 16
	v_pk_mul_f32 v[18:19], v[48:49], v[18:19] op_sel_hi:[0,1]
	v_cndmask_b32_e64 v17, v17, 1.0, s[12:13]
	v_cndmask_b32_e64 v16, v16, 1.0, vcc
	s_addc_u32 s31, s31, 0
	s_add_i32 s40, s40, -1
	v_pk_fma_f32 v[72:73], v[16:17], v[18:19], v[58:59]
	s_cmp_lg_u32 s40, 0
	s_cbranch_scc1 .LBB6_28
; %bb.29:                               ;   in Loop: Header=BB6_27 Depth=1
	s_add_i32 s26, s26, 1
	scratch_store_dwordx4 off, v[36:39], off offset:16
	scratch_store_dwordx4 off, v[20:23], off offset:32
	;; [unrolled: 1-line block ×15, first 2 shown]
	s_cmp_lg_u32 s26, s36
	v_mov_b32_e32 v0, 0
	scratch_store_dwordx4 off, v[70:73], off offset:256
	s_cbranch_scc1 .LBB6_27
; %bb.30:
	s_and_saveexec_b64 s[0:1], s[14:15]
	s_cbranch_execz .LBB6_32
; %bb.31:
	s_movk_i32 s0, 0x15d4
	scratch_load_dwordx2 v[42:43], off, s0  ; 8-byte Folded Reload
	scratch_load_dwordx4 v[24:27], off, off offset:80
	scratch_load_dwordx4 v[16:19], off, off offset:96
	v_mul_f32_e32 v28, 0.5, v36
	v_mul_f32_e32 v29, 0.5, v37
	;; [unrolled: 1-line block ×12, first 2 shown]
	scratch_load_dwordx4 v[12:15], off, off offset:112
	scratch_load_dwordx4 v[8:11], off, off offset:128
	;; [unrolled: 1-line block ×4, first 2 shown]
	s_waitcnt vmcnt(6)
	v_mov_b32_e32 v43, 0
	v_mul_f32_e32 v32, 0.5, v20
	v_mul_f32_e32 v33, 0.5, v21
	;; [unrolled: 1-line block ×4, first 2 shown]
	v_lshl_add_u64 v[20:21], v[42:43], 2, s[20:21]
	v_add_u32_e32 v42, s33, v42
	global_store_dword v[20:21], v28, off
	v_lshl_add_u64 v[20:21], v[42:43], 2, s[20:21]
	v_add_u32_e32 v42, s33, v42
	global_store_dword v[20:21], v29, off
	;; [unrolled: 3-line block ×16, first 2 shown]
	v_lshl_add_u64 v[20:21], v[42:43], 2, s[20:21]
	v_add_u32_e32 v42, s33, v42
	v_lshl_add_u64 v[22:23], v[42:43], 2, s[20:21]
	v_add_u32_e32 v42, s33, v42
	v_lshl_add_u64 v[28:29], v[42:43], 2, s[20:21]
	s_waitcnt vmcnt(21)
	v_mul_f32_e32 v24, 0.5, v24
	v_add_u32_e32 v42, s33, v42
	v_mul_f32_e32 v25, 0.5, v25
	v_mul_f32_e32 v26, 0.5, v26
	global_store_dword v[20:21], v24, off
	global_store_dword v[22:23], v25, off
	;; [unrolled: 1-line block ×3, first 2 shown]
	v_mul_f32_e32 v22, 0.5, v27
	v_lshl_add_u64 v[20:21], v[42:43], 2, s[20:21]
	v_add_u32_e32 v42, s33, v42
	global_store_dword v[20:21], v22, off
	s_waitcnt vmcnt(24)
	v_mul_f32_e32 v16, 0.5, v16
	v_lshl_add_u64 v[20:21], v[42:43], 2, s[20:21]
	v_add_u32_e32 v42, s33, v42
	global_store_dword v[20:21], v16, off
	v_mul_f32_e32 v24, 0.5, v17
	scratch_load_dwordx4 v[20:23], off, off offset:176
	v_lshl_add_u64 v[16:17], v[42:43], 2, s[20:21]
	v_add_u32_e32 v42, s33, v42
	global_store_dword v[16:17], v24, off
	v_mul_f32_e32 v18, 0.5, v18
	v_lshl_add_u64 v[16:17], v[42:43], 2, s[20:21]
	v_add_u32_e32 v42, s33, v42
	global_store_dword v[16:17], v18, off
	v_mul_f32_e32 v18, 0.5, v19
	v_lshl_add_u64 v[16:17], v[42:43], 2, s[20:21]
	v_add_u32_e32 v42, s33, v42
	global_store_dword v[16:17], v18, off
	s_waitcnt vmcnt(28)
	v_mul_f32_e32 v12, 0.5, v12
	v_lshl_add_u64 v[16:17], v[42:43], 2, s[20:21]
	v_add_u32_e32 v42, s33, v42
	global_store_dword v[16:17], v12, off
	scratch_load_dwordx4 v[16:19], off, off offset:192
	v_mul_f32_e32 v24, 0.5, v13
	v_lshl_add_u64 v[12:13], v[42:43], 2, s[20:21]
	v_add_u32_e32 v42, s33, v42
	global_store_dword v[12:13], v24, off
	v_mul_f32_e32 v14, 0.5, v14
	v_lshl_add_u64 v[12:13], v[42:43], 2, s[20:21]
	v_add_u32_e32 v42, s33, v42
	global_store_dword v[12:13], v14, off
	;; [unrolled: 4-line block ×3, first 2 shown]
	s_waitcnt vmcnt(32)
	v_mul_f32_e32 v8, 0.5, v8
	v_lshl_add_u64 v[12:13], v[42:43], 2, s[20:21]
	global_store_dword v[12:13], v8, off
	scratch_load_dwordx4 v[12:15], off, off offset:208
	v_add_u32_e32 v42, s33, v42
	v_mul_f32_e32 v24, 0.5, v9
	v_lshl_add_u64 v[8:9], v[42:43], 2, s[20:21]
	v_add_u32_e32 v42, s33, v42
	global_store_dword v[8:9], v24, off
	v_mul_f32_e32 v10, 0.5, v10
	v_lshl_add_u64 v[8:9], v[42:43], 2, s[20:21]
	v_add_u32_e32 v42, s33, v42
	global_store_dword v[8:9], v10, off
	;; [unrolled: 4-line block ×3, first 2 shown]
	scratch_load_dwordx4 v[8:11], off, off offset:224
	s_waitcnt vmcnt(37)
	v_mul_f32_e32 v4, 0.5, v4
	v_lshl_add_u64 v[24:25], v[42:43], 2, s[20:21]
	v_add_u32_e32 v42, s33, v42
	global_store_dword v[24:25], v4, off
	v_mul_f32_e32 v24, 0.5, v5
	v_lshl_add_u64 v[4:5], v[42:43], 2, s[20:21]
	v_add_u32_e32 v42, s33, v42
	global_store_dword v[4:5], v24, off
	;; [unrolled: 4-line block ×4, first 2 shown]
	s_waitcnt vmcnt(40)
	v_mul_f32_e32 v0, 0.5, v0
	scratch_load_dwordx4 v[4:7], off, off offset:240
	v_lshl_add_u64 v[24:25], v[42:43], 2, s[20:21]
	v_add_u32_e32 v42, s33, v42
	global_store_dword v[24:25], v0, off
	v_mul_f32_e32 v24, 0.5, v1
	v_lshl_add_u64 v[0:1], v[42:43], 2, s[20:21]
	v_add_u32_e32 v42, s33, v42
	global_store_dword v[0:1], v24, off
	v_mul_f32_e32 v2, 0.5, v2
	;; [unrolled: 4-line block ×3, first 2 shown]
	v_lshl_add_u64 v[0:1], v[42:43], 2, s[20:21]
	global_store_dword v[0:1], v2, off
	scratch_load_dwordx4 v[0:3], off, off offset:256
	v_add_u32_e32 v42, s33, v42
	s_waitcnt vmcnt(24)
	v_mul_f32_e32 v20, 0.5, v20
	v_lshl_add_u64 v[24:25], v[42:43], 2, s[20:21]
	v_add_u32_e32 v42, s33, v42
	global_store_dword v[24:25], v20, off
	v_mul_f32_e32 v24, 0.5, v21
	v_lshl_add_u64 v[20:21], v[42:43], 2, s[20:21]
	v_add_u32_e32 v42, s33, v42
	global_store_dword v[20:21], v24, off
	v_mul_f32_e32 v22, 0.5, v22
	v_lshl_add_u64 v[20:21], v[42:43], 2, s[20:21]
	v_add_u32_e32 v42, s33, v42
	global_store_dword v[20:21], v22, off
	v_mul_f32_e32 v22, 0.5, v23
	v_lshl_add_u64 v[20:21], v[42:43], 2, s[20:21]
	v_add_u32_e32 v42, s33, v42
	global_store_dword v[20:21], v22, off
	s_waitcnt vmcnt(23)
	v_mul_f32_e32 v16, 0.5, v16
	v_lshl_add_u64 v[20:21], v[42:43], 2, s[20:21]
	v_add_u32_e32 v42, s33, v42
	global_store_dword v[20:21], v16, off
	v_mul_f32_e32 v20, 0.5, v17
	v_lshl_add_u64 v[16:17], v[42:43], 2, s[20:21]
	v_add_u32_e32 v42, s33, v42
	global_store_dword v[16:17], v20, off
	v_mul_f32_e32 v18, 0.5, v18
	v_lshl_add_u64 v[16:17], v[42:43], 2, s[20:21]
	v_add_u32_e32 v42, s33, v42
	global_store_dword v[16:17], v18, off
	v_mul_f32_e32 v18, 0.5, v19
	v_lshl_add_u64 v[16:17], v[42:43], 2, s[20:21]
	v_add_u32_e32 v42, s33, v42
	global_store_dword v[16:17], v18, off
	;; [unrolled: 17-line block ×5, first 2 shown]
	s_waitcnt vmcnt(20)
	v_mul_f32_e32 v0, 0.5, v0
	v_lshl_add_u64 v[4:5], v[42:43], 2, s[20:21]
	v_add_u32_e32 v42, s33, v42
	global_store_dword v[4:5], v0, off
	v_mul_f32_e32 v4, 0.5, v1
	v_lshl_add_u64 v[0:1], v[42:43], 2, s[20:21]
	v_add_u32_e32 v42, s33, v42
	global_store_dword v[0:1], v4, off
	;; [unrolled: 4-line block ×3, first 2 shown]
	v_mul_f32_e32 v2, 0.5, v3
	v_lshl_add_u64 v[0:1], v[42:43], 2, s[20:21]
	global_store_dword v[0:1], v2, off
.LBB6_32:
	s_endpgm
	.section	.rodata,"a",@progbits
	.p2align	6, 0x0
	.amdhsa_kernel _ZL11fasten_mainILm64EEviiPK4AtomS2_PKfS4_S4_S4_S4_S4_PfPK8FFParamsi
		.amdhsa_group_segment_fixed_size 0
		.amdhsa_private_segment_fixed_size 5600
		.amdhsa_kernarg_size 352
		.amdhsa_user_sgpr_count 2
		.amdhsa_user_sgpr_dispatch_ptr 0
		.amdhsa_user_sgpr_queue_ptr 0
		.amdhsa_user_sgpr_kernarg_segment_ptr 1
		.amdhsa_user_sgpr_dispatch_id 0
		.amdhsa_user_sgpr_kernarg_preload_length 0
		.amdhsa_user_sgpr_kernarg_preload_offset 0
		.amdhsa_user_sgpr_private_segment_size 0
		.amdhsa_uses_dynamic_stack 0
		.amdhsa_enable_private_segment 1
		.amdhsa_system_sgpr_workgroup_id_x 1
		.amdhsa_system_sgpr_workgroup_id_y 0
		.amdhsa_system_sgpr_workgroup_id_z 0
		.amdhsa_system_sgpr_workgroup_info 0
		.amdhsa_system_vgpr_workitem_id 0
		.amdhsa_next_free_vgpr 128
		.amdhsa_next_free_sgpr 47
		.amdhsa_accum_offset 128
		.amdhsa_reserve_vcc 1
		.amdhsa_float_round_mode_32 0
		.amdhsa_float_round_mode_16_64 0
		.amdhsa_float_denorm_mode_32 3
		.amdhsa_float_denorm_mode_16_64 3
		.amdhsa_dx10_clamp 1
		.amdhsa_ieee_mode 1
		.amdhsa_fp16_overflow 0
		.amdhsa_tg_split 0
		.amdhsa_exception_fp_ieee_invalid_op 0
		.amdhsa_exception_fp_denorm_src 0
		.amdhsa_exception_fp_ieee_div_zero 0
		.amdhsa_exception_fp_ieee_overflow 0
		.amdhsa_exception_fp_ieee_underflow 0
		.amdhsa_exception_fp_ieee_inexact 0
		.amdhsa_exception_int_div_zero 0
	.end_amdhsa_kernel
	.section	.text._ZL11fasten_mainILm64EEviiPK4AtomS2_PKfS4_S4_S4_S4_S4_PfPK8FFParamsi,"axG",@progbits,_ZL11fasten_mainILm64EEviiPK4AtomS2_PKfS4_S4_S4_S4_S4_PfPK8FFParamsi,comdat
.Lfunc_end6:
	.size	_ZL11fasten_mainILm64EEviiPK4AtomS2_PKfS4_S4_S4_S4_S4_PfPK8FFParamsi, .Lfunc_end6-_ZL11fasten_mainILm64EEviiPK4AtomS2_PKfS4_S4_S4_S4_S4_PfPK8FFParamsi
                                        ; -- End function
	.section	.AMDGPU.csdata,"",@progbits
; Kernel info:
; codeLenInByte = 37820
; NumSgprs: 53
; NumVgprs: 128
; NumAgprs: 0
; TotalNumVgprs: 128
; ScratchSize: 5600
; MemoryBound: 0
; FloatMode: 240
; IeeeMode: 1
; LDSByteSize: 0 bytes/workgroup (compile time only)
; SGPRBlocks: 6
; VGPRBlocks: 15
; NumSGPRsForWavesPerEU: 53
; NumVGPRsForWavesPerEU: 128
; AccumOffset: 128
; Occupancy: 4
; WaveLimiterHint : 1
; COMPUTE_PGM_RSRC2:SCRATCH_EN: 1
; COMPUTE_PGM_RSRC2:USER_SGPR: 2
; COMPUTE_PGM_RSRC2:TRAP_HANDLER: 0
; COMPUTE_PGM_RSRC2:TGID_X_EN: 1
; COMPUTE_PGM_RSRC2:TGID_Y_EN: 0
; COMPUTE_PGM_RSRC2:TGID_Z_EN: 0
; COMPUTE_PGM_RSRC2:TIDIG_COMP_CNT: 0
; COMPUTE_PGM_RSRC3_GFX90A:ACCUM_OFFSET: 31
; COMPUTE_PGM_RSRC3_GFX90A:TG_SPLIT: 0
	.section	.text._ZL11fasten_mainILm128EEviiPK4AtomS2_PKfS4_S4_S4_S4_S4_PfPK8FFParamsi,"axG",@progbits,_ZL11fasten_mainILm128EEviiPK4AtomS2_PKfS4_S4_S4_S4_S4_PfPK8FFParamsi,comdat
	.globl	_ZL11fasten_mainILm128EEviiPK4AtomS2_PKfS4_S4_S4_S4_S4_PfPK8FFParamsi ; -- Begin function _ZL11fasten_mainILm128EEviiPK4AtomS2_PKfS4_S4_S4_S4_S4_PfPK8FFParamsi
	.p2align	8
	.type	_ZL11fasten_mainILm128EEviiPK4AtomS2_PKfS4_S4_S4_S4_S4_PfPK8FFParamsi,@function
_ZL11fasten_mainILm128EEviiPK4AtomS2_PKfS4_S4_S4_S4_S4_PfPK8FFParamsi: ; @_ZL11fasten_mainILm128EEviiPK4AtomS2_PKfS4_S4_S4_S4_S4_PfPK8FFParamsi
; %bb.0:
	s_load_dword s3, s[0:1], 0x6c
	s_load_dword s4, s[0:1], 0x58
	s_load_dwordx16 s[36:51], s[0:1], 0x8
	s_mov_b32 s11, 0
	v_mov_b32_e32 v6, 16
	s_waitcnt lgkmcnt(0)
	s_and_b32 s33, s3, 0xffff
	s_mul_i32 s2, s2, s33
	v_lshl_add_u32 v40, s2, 7, v0
	s_add_i32 s2, s4, 0xffffff80
	v_mov_b32_e32 v0, s2
	v_cmp_gt_i32_e64 s[2:3], s4, v40
	s_lshl_b32 s10, s33, 2
	s_brev_b32 s16, 18
	v_cndmask_b32_e64 v0, v0, v40, s[2:3]
	v_ashrrev_i32_e32 v1, 31, v0
	v_lshlrev_b64 v[0:1], 2, v[0:1]
	s_mov_b32 s17, 0xfe5163ab
	s_mov_b32 s18, 0x3c439041
	;; [unrolled: 1-line block ×10, first 2 shown]
	v_mov_b32_e32 v7, 0x3c0881c4
	v_mov_b32_e32 v8, 0xbab64f3b
	;; [unrolled: 1-line block ×3, first 2 shown]
	s_movk_i32 s27, 0x1f8
	v_mov_b32_e32 v9, 0x210
	v_not_b32_e32 v10, 63
	v_not_b32_e32 v11, 31
	v_mov_b32_e32 v12, 0x7fc00000
	s_mov_b32 s28, s11
                                        ; implicit-def: $vgpr2
                                        ; implicit-def: $vgpr2
                                        ; implicit-def: $vgpr2
	s_branch .LBB7_2
.LBB7_1:                                ;   in Loop: Header=BB7_2 Depth=1
	s_or_b64 exec, exec, s[4:5]
	v_mul_f32_e32 v28, v27, v27
	v_fmamk_f32 v29, v28, 0xb94c1982, v7
	v_fmaak_f32 v29, v28, v29, 0xbe2aaa9d
	v_mul_f32_e32 v29, v28, v29
	v_fmac_f32_e32 v27, v27, v29
	v_fmamk_f32 v29, v28, 0x37d75334, v8
	v_fmaak_f32 v29, v28, v29, 0x3d2aabf7
	v_fmaak_f32 v29, v28, v29, 0xbf000004
	v_fma_f32 v28, v28, v29, 1.0
	v_and_b32_e32 v29, 1, v26
	v_lshlrev_b32_e32 v26, 30, v26
	v_cmp_eq_u32_e32 vcc, 0, v29
	v_and_b32_e32 v26, 0x80000000, v26
	v_xor_b32_e32 v24, v24, v23
	v_cndmask_b32_e32 v27, v28, v27, vcc
	v_xor_b32_e32 v24, v24, v26
	v_xor_b32_e32 v24, v24, v27
	v_cmp_class_f32_e64 vcc, v23, s27
	v_mul_f32_e32 v23, v22, v22
	s_nop 0
	v_cndmask_b32_e32 v28, v12, v24, vcc
	v_fmamk_f32 v24, v23, 0xb94c1982, v7
	v_fmaak_f32 v24, v23, v24, 0xbe2aaa9d
	v_mul_f32_e32 v24, v23, v24
	v_fmac_f32_e32 v22, v22, v24
	v_fmamk_f32 v24, v23, 0x37d75334, v8
	v_fmaak_f32 v24, v23, v24, 0x3d2aabf7
	v_fmaak_f32 v24, v23, v24, 0xbf000004
	v_fma_f32 v23, v23, v24, 1.0
	v_and_b32_e32 v24, 1, v4
	v_cmp_eq_u32_e64 s[4:5], 0, v24
	v_lshlrev_b32_e32 v4, 30, v4
	v_and_b32_e32 v4, 0x80000000, v4
	v_cndmask_b32_e64 v22, -v22, v23, s[4:5]
	v_mul_f32_e32 v24, v21, v21
	v_xor_b32_e32 v4, v4, v22
	v_fmamk_f32 v22, v24, 0xb94c1982, v7
	v_fmaak_f32 v22, v24, v22, 0xbe2aaa9d
	v_mul_f32_e32 v26, v24, v22
	v_lshl_add_u64 v[22:23], s[46:47], 0, v[0:1]
	global_load_dword v23, v[22:23], off
	v_fmamk_f32 v22, v24, 0x37d75334, v8
	v_fmaak_f32 v22, v24, v22, 0x3d2aabf7
	v_fmaak_f32 v22, v24, v22, 0xbf000004
	v_fma_f32 v22, v24, v22, 1.0
	v_and_b32_e32 v24, 1, v20
	v_fmac_f32_e32 v21, v21, v26
	v_lshl_add_u64 v[26:27], s[48:49], 0, v[0:1]
	v_cmp_eq_u32_e64 s[6:7], 0, v24
	v_lshlrev_b32_e32 v20, 30, v20
	global_load_dword v27, v[26:27], off
	v_cndmask_b32_e64 v22, v22, v21, s[6:7]
	v_and_b32_e32 v24, 0x80000000, v20
	v_lshl_add_u64 v[20:21], s[50:51], 0, v[0:1]
	global_load_dword v29, v[20:21], off
	v_cmp_class_f32_e64 s[4:5], v18, s27
	v_xor_b32_e32 v18, v19, v18
	v_mul_f32_e32 v19, v17, v17
	v_fmamk_f32 v20, v19, 0xb94c1982, v7
	v_fmaak_f32 v20, v19, v20, 0xbe2aaa9d
	v_mul_f32_e32 v20, v19, v20
	v_fmac_f32_e32 v17, v17, v20
	v_fmamk_f32 v20, v19, 0x37d75334, v8
	v_fmaak_f32 v20, v19, v20, 0x3d2aabf7
	v_xor_b32_e32 v18, v18, v24
	v_fmaak_f32 v20, v19, v20, 0xbf000004
	v_xor_b32_e32 v18, v18, v22
	v_fma_f32 v19, v19, v20, 1.0
	v_and_b32_e32 v20, 1, v16
	v_cndmask_b32_e64 v4, v12, v4, s[4:5]
	v_cndmask_b32_e64 v18, v12, v18, s[4:5]
	v_cmp_eq_u32_e64 s[4:5], 0, v20
	v_lshlrev_b32_e32 v16, 30, v16
	v_and_b32_e32 v16, 0x80000000, v16
	v_cndmask_b32_e64 v17, -v17, v19, s[4:5]
	v_xor_b32_e32 v16, v16, v17
	v_cmp_class_f32_e64 s[4:5], v5, s27
	v_xor_b32_e32 v5, v13, v5
	v_lshl_add_u64 v[0:1], v[0:1], 0, s[10:11]
	v_cndmask_b32_e64 v17, v12, v16, s[4:5]
	v_mul_f32_e32 v16, v15, v15
	v_fmamk_f32 v19, v16, 0xb94c1982, v7
	v_fmaak_f32 v19, v16, v19, 0xbe2aaa9d
	v_mul_f32_e32 v19, v16, v19
	v_fmac_f32_e32 v15, v15, v19
	v_fmamk_f32 v19, v16, 0x37d75334, v8
	v_fmaak_f32 v19, v16, v19, 0x3d2aabf7
	v_fmaak_f32 v19, v16, v19, 0xbf000004
	v_fma_f32 v16, v16, v19, 1.0
	v_and_b32_e32 v19, 1, v14
	v_lshlrev_b32_e32 v14, 30, v14
	v_cmp_eq_u32_e64 s[6:7], 0, v19
	v_and_b32_e32 v14, 0x80000000, v14
	v_xor_b32_e32 v5, v5, v14
	v_cndmask_b32_e64 v15, v16, v15, s[6:7]
	v_xor_b32_e32 v5, v5, v15
	v_cndmask_b32_e64 v16, v12, v5, s[4:5]
	v_mul_f32_e32 v5, v25, v25
	v_fmamk_f32 v13, v5, 0xb94c1982, v7
	v_fmaak_f32 v13, v5, v13, 0xbe2aaa9d
	v_mul_f32_e32 v13, v5, v13
	v_fmac_f32_e32 v25, v25, v13
	v_fmamk_f32 v13, v5, 0x37d75334, v8
	v_fmaak_f32 v13, v5, v13, 0x3d2aabf7
	v_fmaak_f32 v13, v5, v13, 0xbf000004
	v_fma_f32 v5, v5, v13, 1.0
	v_and_b32_e32 v13, 1, v2
	v_cmp_eq_u32_e64 s[4:5], 0, v13
	v_lshlrev_b32_e32 v2, 30, v2
	v_and_b32_e32 v2, 0x80000000, v2
	v_cndmask_b32_e64 v5, -v25, v5, s[4:5]
	v_xor_b32_e32 v2, v2, v5
	v_cndmask_b32_e32 v14, v12, v2, vcc
	v_mul_f32_e32 v13, v16, v18
	v_mul_f32_e32 v5, v13, v14
	;; [unrolled: 1-line block ×3, first 2 shown]
	v_pk_add_f32 v[20:21], v[4:5], v[14:15] neg_lo:[0,1] neg_hi:[0,1]
	v_mul_f32_e32 v5, v13, v28
	v_mul_f32_e32 v13, v17, v14
	v_add_u32_e32 v2, s28, v9
	v_mul_f32_e32 v15, v17, v18
	v_pk_add_f32 v[24:25], v[4:5], v[12:13]
	v_mul_f32_e32 v5, v16, v14
	v_mul_f32_e32 v22, v15, v14
	;; [unrolled: 1-line block ×3, first 2 shown]
	v_add_u32_e32 v19, 16, v2
	v_fma_f32 v26, v15, v28, -v5
	v_mul_f32_e32 v24, v4, v28
	v_pk_mul_f32 v[4:5], v[16:17], v[4:5] op_sel_hi:[1,0]
	s_add_i32 s4, s28, 0x210
	v_fmac_f32_e32 v22, v16, v28
	s_waitcnt vmcnt(1)
	scratch_store_dwordx4 v19, v[24:27], off
	v_add_u32_e32 v2, 32, v2
	v_mov_b32_e32 v28, v5
	v_xor_b32_e32 v26, 0x80000000, v18
	v_mov_b32_e32 v27, v4
	s_add_i32 s28, s28, 48
	scratch_store_dwordx4 off, v[20:23], s4
	s_waitcnt vmcnt(2)
	scratch_store_dwordx4 v2, v[26:29], off
	scratch_store_dword v6, v3, off
	s_cmpk_lg_i32 s28, 0x1800
	v_add_u32_e32 v6, 4, v6
	s_cbranch_scc0 .LBB7_26
.LBB7_2:                                ; =>This Inner Loop Header: Depth=1
	v_lshl_add_u64 v[4:5], s[40:41], 0, v[0:1]
	global_load_dword v5, v[4:5], off
                                        ; implicit-def: $vgpr14
                                        ; implicit-def: $vgpr15
	s_waitcnt vmcnt(0)
	v_and_b32_e32 v13, 0x7fffffff, v5
	v_lshrrev_b32_e32 v2, 23, v13
	v_and_b32_e32 v4, 0x7fffff, v13
	v_cmp_nlt_f32_e64 s[12:13], |v5|, s16
	v_add_u32_e32 v18, 0xffffff88, v2
	v_or_b32_e32 v4, 0x800000, v4
	s_and_saveexec_b64 s[4:5], s[12:13]
	s_xor_b64 s[14:15], exec, s[4:5]
	s_cbranch_execz .LBB7_4
; %bb.3:                                ;   in Loop: Header=BB7_2 Depth=1
	v_cmp_lt_u32_e32 vcc, 63, v18
	s_nop 1
	v_cndmask_b32_e32 v2, 0, v10, vcc
	v_add_u32_e32 v2, v2, v18
	v_cmp_lt_u32_e64 s[4:5], 31, v2
	s_nop 1
	v_cndmask_b32_e64 v14, 0, v11, s[4:5]
	v_add_u32_e32 v2, v14, v2
	v_cmp_lt_u32_e64 s[6:7], 31, v2
	s_nop 1
	v_cndmask_b32_e64 v14, 0, v11, s[6:7]
	v_add_u32_e32 v19, v14, v2
	v_mad_u64_u32 v[14:15], s[8:9], v4, s17, 0
	v_mov_b32_e32 v2, v15
	v_mad_u64_u32 v[16:17], s[8:9], v4, s18, v[2:3]
	v_mov_b32_e32 v2, v17
	v_mad_u64_u32 v[20:21], s[8:9], v4, s19, v[2:3]
	v_mov_b32_e32 v2, v21
	v_mad_u64_u32 v[22:23], s[8:9], v4, s20, v[2:3]
	v_mov_b32_e32 v2, v23
	v_mad_u64_u32 v[24:25], s[8:9], v4, s21, v[2:3]
	v_mov_b32_e32 v2, v25
	v_mad_u64_u32 v[26:27], s[8:9], v4, s22, v[2:3]
	v_mov_b32_e32 v2, v27
	v_mad_u64_u32 v[28:29], s[8:9], v4, s23, v[2:3]
	v_cndmask_b32_e32 v15, v26, v22, vcc
	v_cndmask_b32_e32 v2, v28, v24, vcc
	;; [unrolled: 1-line block ×3, first 2 shown]
	v_cndmask_b32_e64 v17, v2, v15, s[4:5]
	v_cndmask_b32_e64 v2, v21, v2, s[4:5]
	v_cndmask_b32_e32 v21, v24, v20, vcc
	v_cndmask_b32_e64 v15, v15, v21, s[4:5]
	v_cndmask_b32_e32 v16, v22, v16, vcc
	v_cndmask_b32_e64 v2, v2, v17, s[6:7]
	v_cndmask_b32_e64 v17, v17, v15, s[6:7]
	v_sub_u32_e32 v23, 32, v19
	v_cmp_eq_u32_e64 s[8:9], 0, v19
	v_cndmask_b32_e64 v19, v21, v16, s[4:5]
	v_alignbit_b32 v24, v2, v17, v23
	v_cndmask_b32_e64 v15, v15, v19, s[6:7]
	v_cndmask_b32_e32 v14, v20, v14, vcc
	v_cndmask_b32_e64 v2, v24, v2, s[8:9]
	v_alignbit_b32 v21, v17, v15, v23
	v_cndmask_b32_e64 v14, v16, v14, s[4:5]
	v_cndmask_b32_e64 v17, v21, v17, s[8:9]
	v_bfe_u32 v24, v2, 29, 1
	v_cndmask_b32_e64 v14, v19, v14, s[6:7]
	v_alignbit_b32 v21, v2, v17, 30
	v_sub_u32_e32 v25, 0, v24
	v_alignbit_b32 v16, v15, v14, v23
	v_xor_b32_e32 v26, v21, v25
	v_cndmask_b32_e64 v15, v16, v15, s[8:9]
	v_alignbit_b32 v16, v17, v15, 30
	v_ffbh_u32_e32 v17, v26
	v_add_u32_e32 v17, 1, v17
	v_cmp_ne_u32_e32 vcc, v21, v25
	v_alignbit_b32 v14, v15, v14, 30
	v_xor_b32_e32 v16, v16, v25
	v_cndmask_b32_e32 v17, 33, v17, vcc
	v_sub_u32_e32 v19, 32, v17
	v_xor_b32_e32 v14, v14, v25
	v_alignbit_b32 v20, v26, v16, v19
	v_alignbit_b32 v14, v16, v14, v19
	;; [unrolled: 1-line block ×3, first 2 shown]
	v_ffbh_u32_e32 v16, v15
	v_min_u32_e32 v16, 32, v16
	v_lshrrev_b32_e32 v22, 29, v2
	v_sub_u32_e32 v19, 31, v16
	v_alignbit_b32 v14, v15, v14, v19
	v_lshlrev_b32_e32 v15, 31, v22
	v_or_b32_e32 v19, 0x33800000, v15
	v_add_lshl_u32 v16, v16, v17, 23
	v_lshrrev_b32_e32 v14, 9, v14
	v_sub_u32_e32 v16, v19, v16
	v_or_b32_e32 v14, v16, v14
	v_alignbit_b32 v16, v17, v20, 9
	v_or_b32_e32 v15, v16, v15
	v_xor_b32_e32 v15, 1.0, v15
	v_mul_f32_e32 v16, 0x3fc90fda, v15
	v_fma_f32 v17, v15, s24, -v16
	v_fmac_f32_e32 v17, 0x33a22168, v15
	v_fmac_f32_e32 v17, 0x3fc90fda, v14
	v_lshrrev_b32_e32 v2, 30, v2
	v_add_f32_e32 v15, v16, v17
	v_add_u32_e32 v14, v24, v2
.LBB7_4:                                ;   in Loop: Header=BB7_2 Depth=1
	s_or_saveexec_b64 s[4:5], s[14:15]
	v_mul_f32_e64 v2, |v5|, s25
	v_rndne_f32_e32 v2, v2
	s_xor_b64 exec, exec, s[4:5]
; %bb.5:                                ;   in Loop: Header=BB7_2 Depth=1
	v_cvt_i32_f32_e32 v14, v2
	v_fma_f32 v15, v2, s26, |v5|
	v_fmac_f32_e32 v15, 0xb3a22168, v2
	v_fmac_f32_e32 v15, 0xa7c234c4, v2
; %bb.6:                                ;   in Loop: Header=BB7_2 Depth=1
	s_or_b64 exec, exec, s[4:5]
                                        ; implicit-def: $vgpr16
                                        ; implicit-def: $vgpr17
	s_and_saveexec_b64 s[4:5], s[12:13]
	s_xor_b64 s[12:13], exec, s[4:5]
	s_cbranch_execz .LBB7_8
; %bb.7:                                ;   in Loop: Header=BB7_2 Depth=1
	v_cmp_lt_u32_e32 vcc, 63, v18
	s_nop 1
	v_cndmask_b32_e32 v2, 0, v10, vcc
	v_add_u32_e32 v2, v2, v18
	v_cmp_lt_u32_e64 s[4:5], 31, v2
	s_nop 1
	v_cndmask_b32_e64 v16, 0, v11, s[4:5]
	v_add_u32_e32 v2, v16, v2
	v_cmp_lt_u32_e64 s[6:7], 31, v2
	s_nop 1
	v_cndmask_b32_e64 v16, 0, v11, s[6:7]
	v_add_u32_e32 v30, v16, v2
	v_mad_u64_u32 v[16:17], s[8:9], v4, s17, 0
	v_mov_b32_e32 v2, v17
	v_mad_u64_u32 v[18:19], s[8:9], v4, s18, v[2:3]
	v_mov_b32_e32 v2, v19
	;; [unrolled: 2-line block ×6, first 2 shown]
	v_mad_u64_u32 v[28:29], s[8:9], v4, s23, v[2:3]
	v_cndmask_b32_e32 v17, v26, v22, vcc
	v_cndmask_b32_e32 v2, v28, v24, vcc
	;; [unrolled: 1-line block ×3, first 2 shown]
	v_cndmask_b32_e64 v4, v2, v17, s[4:5]
	v_cndmask_b32_e64 v2, v19, v2, s[4:5]
	v_cndmask_b32_e32 v19, v24, v20, vcc
	v_cndmask_b32_e64 v17, v17, v19, s[4:5]
	v_cndmask_b32_e32 v18, v22, v18, vcc
	v_cndmask_b32_e64 v2, v2, v4, s[6:7]
	v_cndmask_b32_e64 v4, v4, v17, s[6:7]
	v_sub_u32_e32 v21, 32, v30
	v_cndmask_b32_e64 v19, v19, v18, s[4:5]
	v_alignbit_b32 v23, v2, v4, v21
	v_cmp_eq_u32_e64 s[8:9], 0, v30
	v_cndmask_b32_e64 v17, v17, v19, s[6:7]
	v_alignbit_b32 v22, v4, v17, v21
	v_cndmask_b32_e64 v2, v23, v2, s[8:9]
	v_cndmask_b32_e32 v16, v20, v16, vcc
	v_cndmask_b32_e64 v4, v22, v4, s[8:9]
	v_bfe_u32 v24, v2, 29, 1
	v_cndmask_b32_e64 v16, v18, v16, s[4:5]
	v_alignbit_b32 v22, v2, v4, 30
	v_sub_u32_e32 v25, 0, v24
	v_cndmask_b32_e64 v16, v19, v16, s[6:7]
	v_xor_b32_e32 v26, v22, v25
	v_alignbit_b32 v18, v17, v16, v21
	v_cndmask_b32_e64 v17, v18, v17, s[8:9]
	v_ffbh_u32_e32 v18, v26
	v_add_u32_e32 v18, 1, v18
	v_cmp_ne_u32_e32 vcc, v22, v25
	v_alignbit_b32 v4, v4, v17, 30
	v_alignbit_b32 v16, v17, v16, 30
	v_cndmask_b32_e32 v18, 33, v18, vcc
	v_xor_b32_e32 v4, v4, v25
	v_sub_u32_e32 v19, 32, v18
	v_xor_b32_e32 v16, v16, v25
	v_alignbit_b32 v20, v26, v4, v19
	v_alignbit_b32 v4, v4, v16, v19
	;; [unrolled: 1-line block ×3, first 2 shown]
	v_ffbh_u32_e32 v17, v16
	v_min_u32_e32 v17, 32, v17
	v_lshrrev_b32_e32 v23, 29, v2
	v_sub_u32_e32 v19, 31, v17
	v_alignbit_b32 v4, v16, v4, v19
	v_lshlrev_b32_e32 v16, 31, v23
	v_or_b32_e32 v19, 0x33800000, v16
	v_add_lshl_u32 v17, v17, v18, 23
	v_lshrrev_b32_e32 v4, 9, v4
	v_sub_u32_e32 v17, v19, v17
	v_or_b32_e32 v4, v17, v4
	v_alignbit_b32 v17, v18, v20, 9
	v_or_b32_e32 v16, v17, v16
	v_xor_b32_e32 v16, 1.0, v16
	v_mul_f32_e32 v17, 0x3fc90fda, v16
	v_fma_f32 v18, v16, s24, -v17
	v_fmac_f32_e32 v18, 0x33a22168, v16
	v_fmac_f32_e32 v18, 0x3fc90fda, v4
	v_lshrrev_b32_e32 v2, 30, v2
	v_add_f32_e32 v17, v17, v18
	v_add_u32_e32 v16, v24, v2
                                        ; implicit-def: $vgpr2
	s_andn2_saveexec_b64 s[4:5], s[12:13]
	s_cbranch_execnz .LBB7_9
	s_branch .LBB7_10
.LBB7_8:                                ;   in Loop: Header=BB7_2 Depth=1
	s_andn2_saveexec_b64 s[4:5], s[12:13]
.LBB7_9:                                ;   in Loop: Header=BB7_2 Depth=1
	v_cvt_i32_f32_e32 v16, v2
	v_fma_f32 v17, v2, s26, |v5|
	v_fmac_f32_e32 v17, 0xb3a22168, v2
	v_fmac_f32_e32 v17, 0xa7c234c4, v2
.LBB7_10:                               ;   in Loop: Header=BB7_2 Depth=1
	s_or_b64 exec, exec, s[4:5]
	v_lshl_add_u64 v[18:19], s[42:43], 0, v[0:1]
	global_load_dword v18, v[18:19], off
                                        ; implicit-def: $vgpr20
                                        ; implicit-def: $vgpr21
	s_waitcnt vmcnt(0)
	v_and_b32_e32 v19, 0x7fffffff, v18
	v_lshrrev_b32_e32 v2, 23, v19
	v_and_b32_e32 v4, 0x7fffff, v19
	v_cmp_nlt_f32_e64 s[12:13], |v18|, s16
	v_add_u32_e32 v24, 0xffffff88, v2
	v_or_b32_e32 v23, 0x800000, v4
	s_and_saveexec_b64 s[4:5], s[12:13]
	s_xor_b64 s[14:15], exec, s[4:5]
	s_cbranch_execz .LBB7_12
; %bb.11:                               ;   in Loop: Header=BB7_2 Depth=1
	v_cmp_lt_u32_e32 vcc, 63, v24
	v_mad_u64_u32 v[20:21], s[8:9], v23, s17, 0
	s_nop 0
	v_cndmask_b32_e32 v2, 0, v10, vcc
	v_add_u32_e32 v2, v2, v24
	v_cmp_lt_u32_e64 s[4:5], 31, v2
	s_nop 1
	v_cndmask_b32_e64 v4, 0, v11, s[4:5]
	v_add_u32_e32 v2, v4, v2
	v_cmp_lt_u32_e64 s[6:7], 31, v2
	s_nop 1
	v_cndmask_b32_e64 v4, 0, v11, s[6:7]
	v_add_u32_e32 v4, v4, v2
	v_mov_b32_e32 v2, v21
	v_mad_u64_u32 v[26:27], s[8:9], v23, s18, v[2:3]
	v_mov_b32_e32 v2, v27
	v_mad_u64_u32 v[28:29], s[8:9], v23, s19, v[2:3]
	;; [unrolled: 2-line block ×6, first 2 shown]
	v_cndmask_b32_e32 v21, v34, v30, vcc
	v_cndmask_b32_e32 v2, v36, v32, vcc
	;; [unrolled: 1-line block ×3, first 2 shown]
	v_cndmask_b32_e64 v22, v2, v21, s[4:5]
	v_cndmask_b32_e64 v2, v25, v2, s[4:5]
	v_cndmask_b32_e32 v25, v32, v28, vcc
	v_cndmask_b32_e64 v21, v21, v25, s[4:5]
	v_sub_u32_e32 v27, 32, v4
	v_cmp_eq_u32_e64 s[8:9], 0, v4
	v_cndmask_b32_e32 v4, v30, v26, vcc
	v_cndmask_b32_e64 v2, v2, v22, s[6:7]
	v_cndmask_b32_e64 v22, v22, v21, s[6:7]
	;; [unrolled: 1-line block ×3, first 2 shown]
	v_alignbit_b32 v29, v2, v22, v27
	v_cndmask_b32_e64 v21, v21, v25, s[6:7]
	v_cndmask_b32_e32 v20, v28, v20, vcc
	v_cndmask_b32_e64 v2, v29, v2, s[8:9]
	v_alignbit_b32 v26, v22, v21, v27
	v_cndmask_b32_e64 v4, v4, v20, s[4:5]
	v_cndmask_b32_e64 v22, v26, v22, s[8:9]
	v_bfe_u32 v30, v2, 29, 1
	v_cndmask_b32_e64 v4, v25, v4, s[6:7]
	v_alignbit_b32 v26, v2, v22, 30
	v_sub_u32_e32 v31, 0, v30
	v_alignbit_b32 v20, v21, v4, v27
	v_xor_b32_e32 v32, v26, v31
	v_cndmask_b32_e64 v20, v20, v21, s[8:9]
	v_alignbit_b32 v21, v22, v20, 30
	v_ffbh_u32_e32 v22, v32
	v_add_u32_e32 v22, 1, v22
	v_cmp_ne_u32_e32 vcc, v26, v31
	v_alignbit_b32 v4, v20, v4, 30
	v_xor_b32_e32 v21, v21, v31
	v_cndmask_b32_e32 v22, 33, v22, vcc
	v_sub_u32_e32 v25, 32, v22
	v_xor_b32_e32 v4, v4, v31
	v_alignbit_b32 v26, v32, v21, v25
	v_alignbit_b32 v4, v21, v4, v25
	;; [unrolled: 1-line block ×3, first 2 shown]
	v_ffbh_u32_e32 v21, v20
	v_min_u32_e32 v21, 32, v21
	v_lshrrev_b32_e32 v29, 29, v2
	v_sub_u32_e32 v25, 31, v21
	v_alignbit_b32 v4, v20, v4, v25
	v_lshlrev_b32_e32 v20, 31, v29
	v_or_b32_e32 v25, 0x33800000, v20
	v_add_lshl_u32 v21, v21, v22, 23
	v_lshrrev_b32_e32 v4, 9, v4
	v_sub_u32_e32 v21, v25, v21
	v_or_b32_e32 v4, v21, v4
	v_alignbit_b32 v21, v22, v26, 9
	v_or_b32_e32 v20, v21, v20
	v_xor_b32_e32 v20, 1.0, v20
	v_mul_f32_e32 v21, 0x3fc90fda, v20
	v_fma_f32 v22, v20, s24, -v21
	v_fmac_f32_e32 v22, 0x33a22168, v20
	v_fmac_f32_e32 v22, 0x3fc90fda, v4
	v_lshrrev_b32_e32 v2, 30, v2
	v_add_f32_e32 v21, v21, v22
	v_add_u32_e32 v20, v30, v2
.LBB7_12:                               ;   in Loop: Header=BB7_2 Depth=1
	s_or_saveexec_b64 s[4:5], s[14:15]
	v_mul_f32_e64 v2, |v18|, s25
	v_rndne_f32_e32 v2, v2
	s_xor_b64 exec, exec, s[4:5]
; %bb.13:                               ;   in Loop: Header=BB7_2 Depth=1
	v_cvt_i32_f32_e32 v20, v2
	v_fma_f32 v21, v2, s26, |v18|
	v_fmac_f32_e32 v21, 0xb3a22168, v2
	v_fmac_f32_e32 v21, 0xa7c234c4, v2
; %bb.14:                               ;   in Loop: Header=BB7_2 Depth=1
	s_or_b64 exec, exec, s[4:5]
                                        ; implicit-def: $vgpr4
                                        ; implicit-def: $vgpr22
	s_and_saveexec_b64 s[4:5], s[12:13]
	s_xor_b64 s[12:13], exec, s[4:5]
	s_cbranch_execz .LBB7_16
; %bb.15:                               ;   in Loop: Header=BB7_2 Depth=1
	v_cmp_lt_u32_e32 vcc, 63, v24
	s_nop 1
	v_cndmask_b32_e32 v2, 0, v10, vcc
	v_add_u32_e32 v2, v2, v24
	v_cmp_lt_u32_e64 s[4:5], 31, v2
	v_mad_u64_u32 v[24:25], s[8:9], v23, s17, 0
	s_nop 0
	v_cndmask_b32_e64 v4, 0, v11, s[4:5]
	v_add_u32_e32 v2, v4, v2
	v_cmp_lt_u32_e64 s[6:7], 31, v2
	s_nop 1
	v_cndmask_b32_e64 v4, 0, v11, s[6:7]
	v_add_u32_e32 v4, v4, v2
	v_mov_b32_e32 v2, v25
	v_mad_u64_u32 v[26:27], s[8:9], v23, s18, v[2:3]
	v_mov_b32_e32 v2, v27
	v_mad_u64_u32 v[28:29], s[8:9], v23, s19, v[2:3]
	;; [unrolled: 2-line block ×6, first 2 shown]
	v_cndmask_b32_e32 v25, v34, v30, vcc
	v_cndmask_b32_e32 v2, v22, v32, vcc
	;; [unrolled: 1-line block ×3, first 2 shown]
	v_cndmask_b32_e64 v22, v2, v25, s[4:5]
	v_cndmask_b32_e64 v2, v23, v2, s[4:5]
	v_cndmask_b32_e32 v23, v32, v28, vcc
	v_cndmask_b32_e64 v25, v25, v23, s[4:5]
	v_sub_u32_e32 v27, 32, v4
	v_cmp_eq_u32_e64 s[8:9], 0, v4
	v_cndmask_b32_e32 v4, v30, v26, vcc
	v_cndmask_b32_e64 v2, v2, v22, s[6:7]
	v_cndmask_b32_e64 v22, v22, v25, s[6:7]
	;; [unrolled: 1-line block ×3, first 2 shown]
	v_alignbit_b32 v29, v2, v22, v27
	v_cndmask_b32_e64 v25, v25, v23, s[6:7]
	v_cndmask_b32_e64 v2, v29, v2, s[8:9]
	v_alignbit_b32 v26, v22, v25, v27
	v_cndmask_b32_e64 v22, v26, v22, s[8:9]
	v_bfe_u32 v30, v2, 29, 1
	v_cndmask_b32_e32 v24, v28, v24, vcc
	v_alignbit_b32 v26, v2, v22, 30
	v_sub_u32_e32 v31, 0, v30
	v_cndmask_b32_e64 v4, v4, v24, s[4:5]
	v_xor_b32_e32 v32, v26, v31
	v_cndmask_b32_e64 v4, v23, v4, s[6:7]
	v_alignbit_b32 v23, v25, v4, v27
	v_ffbh_u32_e32 v24, v32
	v_cndmask_b32_e64 v23, v23, v25, s[8:9]
	v_add_u32_e32 v24, 1, v24
	v_cmp_ne_u32_e32 vcc, v26, v31
	v_alignbit_b32 v22, v22, v23, 30
	v_alignbit_b32 v4, v23, v4, 30
	v_cndmask_b32_e32 v24, 33, v24, vcc
	v_xor_b32_e32 v22, v22, v31
	v_sub_u32_e32 v25, 32, v24
	v_xor_b32_e32 v4, v4, v31
	v_alignbit_b32 v26, v32, v22, v25
	v_alignbit_b32 v4, v22, v4, v25
	;; [unrolled: 1-line block ×3, first 2 shown]
	v_ffbh_u32_e32 v23, v22
	v_min_u32_e32 v23, 32, v23
	v_lshrrev_b32_e32 v29, 29, v2
	v_sub_u32_e32 v25, 31, v23
	v_alignbit_b32 v4, v22, v4, v25
	v_lshlrev_b32_e32 v22, 31, v29
	v_or_b32_e32 v25, 0x33800000, v22
	v_add_lshl_u32 v23, v23, v24, 23
	v_lshrrev_b32_e32 v4, 9, v4
	v_sub_u32_e32 v23, v25, v23
	v_or_b32_e32 v4, v23, v4
	v_alignbit_b32 v23, v24, v26, 9
	v_or_b32_e32 v22, v23, v22
	v_xor_b32_e32 v22, 1.0, v22
	v_mul_f32_e32 v23, 0x3fc90fda, v22
	v_fma_f32 v24, v22, s24, -v23
	v_fmac_f32_e32 v24, 0x33a22168, v22
	v_fmac_f32_e32 v24, 0x3fc90fda, v4
	v_lshrrev_b32_e32 v2, 30, v2
	v_add_f32_e32 v22, v23, v24
	v_add_u32_e32 v4, v30, v2
                                        ; implicit-def: $vgpr2
	s_andn2_saveexec_b64 s[4:5], s[12:13]
	s_cbranch_execnz .LBB7_17
	s_branch .LBB7_18
.LBB7_16:                               ;   in Loop: Header=BB7_2 Depth=1
	s_andn2_saveexec_b64 s[4:5], s[12:13]
.LBB7_17:                               ;   in Loop: Header=BB7_2 Depth=1
	v_cvt_i32_f32_e32 v4, v2
	v_fma_f32 v22, v2, s26, |v18|
	v_fmac_f32_e32 v22, 0xb3a22168, v2
	v_fmac_f32_e32 v22, 0xa7c234c4, v2
.LBB7_18:                               ;   in Loop: Header=BB7_2 Depth=1
	s_or_b64 exec, exec, s[4:5]
	v_lshl_add_u64 v[24:25], s[44:45], 0, v[0:1]
	global_load_dword v23, v[24:25], off
                                        ; implicit-def: $vgpr26
                                        ; implicit-def: $vgpr27
	s_waitcnt vmcnt(0)
	v_and_b32_e32 v24, 0x7fffffff, v23
	v_lshrrev_b32_e32 v2, 23, v24
	v_and_b32_e32 v25, 0x7fffff, v24
	v_cmp_nlt_f32_e64 s[12:13], |v23|, s16
	v_add_u32_e32 v29, 0xffffff88, v2
	v_or_b32_e32 v28, 0x800000, v25
	s_and_saveexec_b64 s[4:5], s[12:13]
	s_xor_b64 s[14:15], exec, s[4:5]
	s_cbranch_execz .LBB7_20
; %bb.19:                               ;   in Loop: Header=BB7_2 Depth=1
	v_cmp_lt_u32_e32 vcc, 63, v29
	v_mad_u64_u32 v[26:27], s[8:9], v28, s17, 0
	s_nop 0
	v_cndmask_b32_e32 v2, 0, v10, vcc
	v_add_u32_e32 v2, v2, v29
	v_cmp_lt_u32_e64 s[4:5], 31, v2
	s_nop 1
	v_cndmask_b32_e64 v25, 0, v11, s[4:5]
	v_add_u32_e32 v2, v25, v2
	v_cmp_lt_u32_e64 s[6:7], 31, v2
	s_nop 1
	v_cndmask_b32_e64 v25, 0, v11, s[6:7]
	v_add_u32_e32 v25, v25, v2
	v_mov_b32_e32 v2, v27
	v_mad_u64_u32 v[30:31], s[8:9], v28, s18, v[2:3]
	v_mov_b32_e32 v2, v31
	v_mad_u64_u32 v[32:33], s[8:9], v28, s19, v[2:3]
	;; [unrolled: 2-line block ×6, first 2 shown]
	v_cndmask_b32_e32 v27, v38, v34, vcc
	v_cndmask_b32_e32 v2, v42, v36, vcc
	;; [unrolled: 1-line block ×3, first 2 shown]
	v_cndmask_b32_e64 v31, v2, v27, s[4:5]
	v_cndmask_b32_e64 v2, v33, v2, s[4:5]
	v_cndmask_b32_e32 v33, v36, v32, vcc
	v_cndmask_b32_e64 v27, v27, v33, s[4:5]
	v_sub_u32_e32 v35, 32, v25
	v_cmp_eq_u32_e64 s[8:9], 0, v25
	v_cndmask_b32_e32 v25, v34, v30, vcc
	v_cndmask_b32_e64 v2, v2, v31, s[6:7]
	v_cndmask_b32_e64 v31, v31, v27, s[6:7]
	v_cndmask_b32_e64 v30, v33, v25, s[4:5]
	v_alignbit_b32 v36, v2, v31, v35
	v_cndmask_b32_e64 v27, v27, v30, s[6:7]
	v_cndmask_b32_e64 v2, v36, v2, s[8:9]
	v_alignbit_b32 v33, v31, v27, v35
	v_cndmask_b32_e64 v31, v33, v31, s[8:9]
	v_bfe_u32 v36, v2, 29, 1
	v_cndmask_b32_e32 v26, v32, v26, vcc
	v_alignbit_b32 v33, v2, v31, 30
	v_sub_u32_e32 v37, 0, v36
	v_cndmask_b32_e64 v25, v25, v26, s[4:5]
	v_xor_b32_e32 v38, v33, v37
	v_cndmask_b32_e64 v25, v30, v25, s[6:7]
	v_alignbit_b32 v26, v27, v25, v35
	v_ffbh_u32_e32 v30, v38
	v_cndmask_b32_e64 v26, v26, v27, s[8:9]
	v_add_u32_e32 v30, 1, v30
	v_cmp_ne_u32_e32 vcc, v33, v37
	v_alignbit_b32 v27, v31, v26, 30
	v_alignbit_b32 v25, v26, v25, 30
	v_cndmask_b32_e32 v30, 33, v30, vcc
	v_xor_b32_e32 v27, v27, v37
	v_sub_u32_e32 v31, 32, v30
	v_xor_b32_e32 v25, v25, v37
	v_alignbit_b32 v32, v38, v27, v31
	v_alignbit_b32 v25, v27, v25, v31
	;; [unrolled: 1-line block ×3, first 2 shown]
	v_ffbh_u32_e32 v27, v26
	v_min_u32_e32 v27, 32, v27
	v_lshrrev_b32_e32 v34, 29, v2
	v_sub_u32_e32 v31, 31, v27
	v_alignbit_b32 v25, v26, v25, v31
	v_lshlrev_b32_e32 v26, 31, v34
	v_or_b32_e32 v31, 0x33800000, v26
	v_add_lshl_u32 v27, v27, v30, 23
	v_lshrrev_b32_e32 v25, 9, v25
	v_sub_u32_e32 v27, v31, v27
	v_or_b32_e32 v25, v27, v25
	v_alignbit_b32 v27, v30, v32, 9
	v_or_b32_e32 v26, v27, v26
	v_xor_b32_e32 v26, 1.0, v26
	v_mul_f32_e32 v27, 0x3fc90fda, v26
	v_fma_f32 v30, v26, s24, -v27
	v_fmac_f32_e32 v30, 0x33a22168, v26
	v_fmac_f32_e32 v30, 0x3fc90fda, v25
	v_lshrrev_b32_e32 v2, 30, v2
	v_add_f32_e32 v27, v27, v30
	v_add_u32_e32 v26, v36, v2
.LBB7_20:                               ;   in Loop: Header=BB7_2 Depth=1
	s_or_saveexec_b64 s[4:5], s[14:15]
	v_mul_f32_e64 v2, |v23|, s25
	v_rndne_f32_e32 v30, v2
	s_xor_b64 exec, exec, s[4:5]
; %bb.21:                               ;   in Loop: Header=BB7_2 Depth=1
	v_cvt_i32_f32_e32 v26, v30
	v_fma_f32 v27, v30, s26, |v23|
	v_fmac_f32_e32 v27, 0xb3a22168, v30
	v_fmac_f32_e32 v27, 0xa7c234c4, v30
; %bb.22:                               ;   in Loop: Header=BB7_2 Depth=1
	s_or_b64 exec, exec, s[4:5]
                                        ; implicit-def: $vgpr2
                                        ; implicit-def: $vgpr25
	s_and_saveexec_b64 s[4:5], s[12:13]
	s_xor_b64 s[12:13], exec, s[4:5]
	s_cbranch_execz .LBB7_24
; %bb.23:                               ;   in Loop: Header=BB7_2 Depth=1
	v_cmp_lt_u32_e32 vcc, 63, v29
	v_mad_u64_u32 v[30:31], s[8:9], v28, s17, 0
	s_nop 0
	v_cndmask_b32_e32 v2, 0, v10, vcc
	v_add_u32_e32 v2, v2, v29
	v_cmp_lt_u32_e64 s[4:5], 31, v2
	s_nop 1
	v_cndmask_b32_e64 v25, 0, v11, s[4:5]
	v_add_u32_e32 v2, v25, v2
	v_cmp_lt_u32_e64 s[6:7], 31, v2
	s_nop 1
	v_cndmask_b32_e64 v25, 0, v11, s[6:7]
	v_add_u32_e32 v25, v25, v2
	v_mov_b32_e32 v2, v31
	v_mad_u64_u32 v[32:33], s[8:9], v28, s18, v[2:3]
	v_mov_b32_e32 v2, v33
	v_mad_u64_u32 v[34:35], s[8:9], v28, s19, v[2:3]
	;; [unrolled: 2-line block ×6, first 2 shown]
	v_cndmask_b32_e32 v31, v42, v36, vcc
	v_cndmask_b32_e32 v2, v28, v38, vcc
	;; [unrolled: 1-line block ×3, first 2 shown]
	v_cndmask_b32_e64 v28, v2, v31, s[4:5]
	v_cndmask_b32_e64 v2, v29, v2, s[4:5]
	v_cndmask_b32_e32 v29, v38, v34, vcc
	v_cndmask_b32_e64 v31, v31, v29, s[4:5]
	v_sub_u32_e32 v33, 32, v25
	v_cmp_eq_u32_e64 s[8:9], 0, v25
	v_cndmask_b32_e32 v25, v36, v32, vcc
	v_cndmask_b32_e64 v2, v2, v28, s[6:7]
	v_cndmask_b32_e64 v28, v28, v31, s[6:7]
	;; [unrolled: 1-line block ×3, first 2 shown]
	v_alignbit_b32 v35, v2, v28, v33
	v_cndmask_b32_e64 v31, v31, v29, s[6:7]
	v_cndmask_b32_e64 v2, v35, v2, s[8:9]
	v_alignbit_b32 v32, v28, v31, v33
	v_cndmask_b32_e64 v28, v32, v28, s[8:9]
	v_bfe_u32 v36, v2, 29, 1
	v_cndmask_b32_e32 v30, v34, v30, vcc
	v_alignbit_b32 v32, v2, v28, 30
	v_sub_u32_e32 v37, 0, v36
	v_cndmask_b32_e64 v25, v25, v30, s[4:5]
	v_xor_b32_e32 v38, v32, v37
	v_cndmask_b32_e64 v25, v29, v25, s[6:7]
	v_alignbit_b32 v29, v31, v25, v33
	v_ffbh_u32_e32 v30, v38
	v_cndmask_b32_e64 v29, v29, v31, s[8:9]
	v_add_u32_e32 v30, 1, v30
	v_cmp_ne_u32_e32 vcc, v32, v37
	v_alignbit_b32 v28, v28, v29, 30
	v_alignbit_b32 v25, v29, v25, 30
	v_cndmask_b32_e32 v30, 33, v30, vcc
	v_xor_b32_e32 v28, v28, v37
	v_sub_u32_e32 v31, 32, v30
	v_xor_b32_e32 v25, v25, v37
	v_alignbit_b32 v32, v38, v28, v31
	v_alignbit_b32 v25, v28, v25, v31
	;; [unrolled: 1-line block ×3, first 2 shown]
	v_ffbh_u32_e32 v29, v28
	v_min_u32_e32 v29, 32, v29
	v_lshrrev_b32_e32 v35, 29, v2
	v_sub_u32_e32 v31, 31, v29
	v_alignbit_b32 v25, v28, v25, v31
	v_lshlrev_b32_e32 v28, 31, v35
	v_or_b32_e32 v31, 0x33800000, v28
	v_add_lshl_u32 v29, v29, v30, 23
	v_lshrrev_b32_e32 v25, 9, v25
	v_sub_u32_e32 v29, v31, v29
	v_or_b32_e32 v25, v29, v25
	v_alignbit_b32 v29, v30, v32, 9
	v_or_b32_e32 v28, v29, v28
	v_xor_b32_e32 v28, 1.0, v28
	v_mul_f32_e32 v29, 0x3fc90fda, v28
	v_fma_f32 v30, v28, s24, -v29
	v_fmac_f32_e32 v30, 0x33a22168, v28
	v_fmac_f32_e32 v30, 0x3fc90fda, v25
	v_lshrrev_b32_e32 v2, 30, v2
	v_add_f32_e32 v25, v29, v30
	v_add_u32_e32 v2, v36, v2
                                        ; implicit-def: $vgpr30
	s_andn2_saveexec_b64 s[4:5], s[12:13]
	s_cbranch_execz .LBB7_1
	s_branch .LBB7_25
.LBB7_24:                               ;   in Loop: Header=BB7_2 Depth=1
	s_andn2_saveexec_b64 s[4:5], s[12:13]
	s_cbranch_execz .LBB7_1
.LBB7_25:                               ;   in Loop: Header=BB7_2 Depth=1
	v_cvt_i32_f32_e32 v2, v30
	v_fma_f32 v25, v30, s26, |v23|
	v_fmac_f32_e32 v25, 0xb3a22168, v30
	v_fmac_f32_e32 v25, 0xa7c234c4, v30
	s_branch .LBB7_1
.LBB7_26:
	s_load_dwordx2 s[4:5], s[0:1], 0x0
	s_load_dwordx4 s[28:31], s[0:1], 0x48
	s_mov_b32 s35, 0
	v_mov_b32_e32 v26, 0
	v_mov_b32_e32 v27, 0x210
	s_waitcnt lgkmcnt(0)
	s_max_i32 s41, s5, 1
	s_max_i32 s44, s4, 1
	v_mov_b32_e32 v28, 0x1a10
	s_movk_i32 s45, 0x46
	s_movk_i32 s46, 0x45
	s_mov_b32 s47, 0xf800000
	v_mov_b32_e32 v29, 0x260
	s_mov_b32 s40, 0x42340000
	v_mov_b32_e32 v30, 0x40b00000
	v_mov_b32_e32 v31, 0xff7fffff
	;; [unrolled: 1-line block ×4, first 2 shown]
	s_mov_b32 s42, s35
.LBB7_27:                               ; =>This Loop Header: Depth=1
                                        ;     Child Loop BB7_28 Depth 2
                                        ;     Child Loop BB7_30 Depth 2
                                        ;       Child Loop BB7_31 Depth 3
	s_mov_b32 s43, s35
	s_lshl_b64 s[0:1], s[42:43], 4
	s_add_u32 s0, s38, s0
	s_addc_u32 s1, s39, s1
	global_load_dwordx4 v[4:7], v26, s[0:1]
	s_mov_b32 s0, s35
	s_mov_b32 s1, s35
	s_waitcnt vmcnt(0)
	v_ashrrev_i32_e32 v1, 31, v7
	v_mov_b32_e32 v0, v7
	v_lshlrev_b64 v[0:1], 4, v[0:1]
	v_lshl_add_u64 v[0:1], s[30:31], 0, v[0:1]
	global_load_dwordx4 v[0:3], v[0:1], off
	v_mov_b32_e32 v24, v4
	v_mov_b32_e32 v25, v4
	v_mov_b32_e32 v4, v5
	v_mov_b32_e32 v7, v6
.LBB7_28:                               ;   Parent Loop BB7_27 Depth=1
                                        ; =>  This Inner Loop Header: Depth=2
	v_readfirstlane_b32 s4, v27
	s_add_i32 s5, s1, 0x210
	s_add_i32 s4, s4, s1
	scratch_load_dwordx4 v[8:11], off, s5
	s_add_i32 s5, s4, 48
	s_add_i32 s6, s4, 16
	;; [unrolled: 1-line block ×7, first 2 shown]
	scratch_load_dwordx4 v[34:37], off, s5
	scratch_load_dwordx4 v[12:15], off, s6
	;; [unrolled: 1-line block ×7, first 2 shown]
	s_add_i32 s12, s4, 0x70
	s_add_i32 s13, s4, 0xa0
	;; [unrolled: 1-line block ×3, first 2 shown]
	s_addk_i32 s4, 0xb0
	v_add_u32_e32 v41, s0, v28
	s_addk_i32 s1, 0xc0
	s_waitcnt vmcnt(7)
	v_mov_b32_e32 v38, v11
	v_mov_b32_e32 v54, v8
	s_waitcnt vmcnt(6)
	v_mov_b32_e32 v39, v37
	v_mov_b32_e32 v55, v34
	s_waitcnt vmcnt(5)
	v_mov_b32_e32 v56, v15
	s_waitcnt vmcnt(4)
	v_mov_b32_e32 v57, v45
	v_mov_b32_e32 v58, v12
	;; [unrolled: 1-line block ×3, first 2 shown]
	s_waitcnt vmcnt(3)
	v_mov_b32_e32 v60, v19
	s_waitcnt vmcnt(2)
	v_mov_b32_e32 v61, v49
	v_mov_b32_e32 v62, v16
	;; [unrolled: 1-line block ×3, first 2 shown]
	v_pk_fma_f32 v[38:39], v[24:25], v[54:55], v[38:39]
	s_waitcnt vmcnt(1)
	v_mov_b32_e32 v54, v23
	s_waitcnt vmcnt(0)
	v_mov_b32_e32 v55, v53
	v_pk_fma_f32 v[58:59], v[24:25], v[58:59], v[56:57]
	v_mov_b32_e32 v56, v20
	v_mov_b32_e32 v57, v50
	;; [unrolled: 1-line block ×3, first 2 shown]
	v_pk_fma_f32 v[60:61], v[24:25], v[62:63], v[60:61]
	v_pk_fma_f32 v[62:63], v[24:25], v[56:57], v[54:55]
	scratch_load_dwordx4 v[54:57], off, s12
	v_mov_b32_e32 v11, v36
	v_pk_fma_f32 v[8:9], v[4:5], v[34:35], v[38:39]
	scratch_load_dwordx4 v[34:37], off, s13
	v_mov_b32_e32 v42, v13
	v_mov_b32_e32 v46, v17
	;; [unrolled: 1-line block ×3, first 2 shown]
	v_pk_fma_f32 v[12:13], v[4:5], v[42:43], v[58:59]
	scratch_load_dwordx4 v[42:45], off, s14
	v_mov_b32_e32 v19, v48
	v_pk_fma_f32 v[16:17], v[4:5], v[46:47], v[60:61]
	scratch_load_dwordx4 v[46:49], off, s4
	v_mov_b32_e32 v50, v21
	v_pk_fma_f32 v[20:21], v[4:5], v[50:51], v[62:63]
	s_add_i32 s4, s0, 0x1a10
	s_add_i32 s0, s0, 48
	v_mov_b32_e32 v23, v52
	v_pk_fma_f32 v[10:11], v[6:7], v[10:11], v[8:9]
	v_pk_fma_f32 v[14:15], v[6:7], v[14:15], v[12:13]
	;; [unrolled: 1-line block ×3, first 2 shown]
	s_cmpk_lg_i32 s1, 0x1800
	v_pk_fma_f32 v[16:17], v[6:7], v[22:23], v[20:21]
	v_mov_b32_e32 v8, v10
	v_mov_b32_e32 v9, v14
	;; [unrolled: 1-line block ×5, first 2 shown]
	s_waitcnt vmcnt(3)
	v_mov_b32_e32 v38, v57
	v_mov_b32_e32 v50, v54
	s_waitcnt vmcnt(2)
	v_mov_b32_e32 v39, v37
	v_mov_b32_e32 v51, v34
	v_pk_fma_f32 v[38:39], v[24:25], v[50:51], v[38:39]
	v_mov_b32_e32 v34, v55
	v_mov_b32_e32 v57, v36
	v_pk_fma_f32 v[34:35], v[4:5], v[34:35], v[38:39]
	s_waitcnt vmcnt(1)
	v_mov_b32_e32 v36, v45
	v_mov_b32_e32 v38, v42
	s_waitcnt vmcnt(0)
	v_mov_b32_e32 v37, v49
	v_mov_b32_e32 v39, v46
	;; [unrolled: 1-line block ×3, first 2 shown]
	v_pk_fma_f32 v[36:37], v[24:25], v[38:39], v[36:37]
	v_mov_b32_e32 v45, v48
	v_pk_fma_f32 v[36:37], v[4:5], v[46:47], v[36:37]
	v_pk_fma_f32 v[20:21], v[6:7], v[56:57], v[34:35]
	;; [unrolled: 1-line block ×3, first 2 shown]
	v_add_u32_e32 v50, 16, v41
	v_add_u32_e32 v41, 32, v41
	v_mov_b32_e32 v15, v20
	v_mov_b32_e32 v16, v18
	;; [unrolled: 1-line block ×3, first 2 shown]
	scratch_store_dwordx4 off, v[8:11], s4
	scratch_store_dwordx4 v50, v[12:15], off
	scratch_store_dwordx4 v41, v[16:19], off
	s_cbranch_scc1 .LBB7_28
; %bb.29:                               ;   in Loop: Header=BB7_27 Depth=1
	v_cmp_gt_f32_e64 s[8:9], 0, v2
	v_cmp_lt_f32_e64 s[0:1], 0, v2
	v_cmp_eq_u32_e64 s[4:5], s45, v0
	v_cmp_eq_u32_e64 s[6:7], s46, v0
	v_cndmask_b32_e64 v0, 1.0, v30, s[8:9]
	v_cndmask_b32_e64 v34, v31, 1.0, s[8:9]
	s_mov_b32 s34, 0
.LBB7_30:                               ;   Parent Loop BB7_27 Depth=1
                                        ; =>  This Loop Header: Depth=2
                                        ;       Child Loop BB7_31 Depth 3
	s_lshl_b64 s[10:11], s[34:35], 4
	s_add_u32 s10, s36, s10
	s_addc_u32 s11, s37, s11
	global_load_dwordx4 v[4:7], v26, s[10:11]
	v_mov_b32_e32 v35, 16
	s_mov_b32 s43, 0
	s_waitcnt vmcnt(0)
	v_ashrrev_i32_e32 v9, 31, v7
	v_mov_b32_e32 v8, v7
	v_lshlrev_b64 v[8:9], 4, v[8:9]
	v_lshl_add_u64 v[8:9], s[30:31], 0, v[8:9]
	global_load_dwordx4 v[8:11], v[8:9], off
	v_mov_b32_e32 v12, v4
	v_mov_b32_e32 v13, v4
	;; [unrolled: 1-line block ×4, first 2 shown]
	s_waitcnt vmcnt(0)
	v_cmp_lt_f32_e64 s[14:15], 0, v10
	v_cmp_gt_f32_e64 s[16:17], 0, v10
	s_and_b64 s[14:15], s[14:15], s[8:9]
	v_cmp_eq_u32_e32 vcc, s46, v8
	v_cndmask_b32_e64 v36, v34, v0, s[16:17]
	s_and_b64 s[16:17], s[16:17], s[0:1]
	v_cmp_neq_f32_e64 s[10:11], 0, v10
	v_cmp_eq_u32_e64 s[18:19], s45, v8
	v_add_f32_e32 v16, v1, v9
	v_cndmask_b32_e64 v8, v10, -v10, s[16:17]
	v_cndmask_b32_e64 v9, v2, -v2, s[14:15]
	v_div_scale_f32 v10, s[14:15], v36, v36, 1.0
	v_div_scale_f32 v22, s[16:17], v16, v16, 1.0
	v_add_f32_e32 v20, v8, v9
	v_rcp_f32_e32 v8, v10
	v_rcp_f32_e32 v9, v22
	v_mul_f32_e32 v14, v3, v11
	s_or_b64 s[12:13], vcc, s[6:7]
	v_fma_f32 v24, -v10, v8, 1.0
	v_div_scale_f32 v11, vcc, 1.0, v36, 1.0
	v_fma_f32 v25, -v22, v9, 1.0
	v_fmac_f32_e32 v8, v24, v8
	v_div_scale_f32 v23, s[16:17], 1.0, v16, 1.0
	v_fmac_f32_e32 v9, v25, v9
	v_mul_f32_e32 v24, v11, v8
	v_mul_f32_e32 v25, v23, v9
	v_fma_f32 v38, -v10, v24, v11
	v_fma_f32 v39, -v22, v25, v23
	v_fmac_f32_e32 v24, v38, v8
	v_fmac_f32_e32 v25, v39, v9
	v_fma_f32 v10, -v10, v24, v11
	v_fma_f32 v11, -v22, v25, v23
	v_div_fmas_f32 v8, v10, v8, v24
	s_mov_b64 vcc, s[16:17]
	s_and_b64 s[14:15], s[18:19], s[4:5]
	v_div_fixup_f32 v22, v8, v36, 1.0
	v_div_fmas_f32 v8, v11, v9, v25
	v_cndmask_b32_e64 v18, 0.5, v32, s[14:15]
	v_div_fixup_f32 v24, v8, v16, 1.0
	v_mov_b32_e32 v17, v16
	v_mov_b32_e32 v15, v14
	v_cndmask_b32_e64 v37, 2.0, 4.0, s[14:15]
	v_mov_b32_e32 v19, v18
	v_mov_b32_e32 v21, v20
	;; [unrolled: 1-line block ×4, first 2 shown]
.LBB7_31:                               ;   Parent Loop BB7_27 Depth=1
                                        ;     Parent Loop BB7_30 Depth=2
                                        ; =>    This Inner Loop Header: Depth=3
	v_add_u32_e32 v38, s43, v28
	s_add_i32 s14, s43, 0x1a10
	scratch_load_dwordx4 v[42:45], off, s14
	v_add_u32_e32 v39, 16, v38
	scratch_load_dwordx4 v[8:11], v35, off
	v_add_u32_e32 v38, 32, v38
	scratch_load_dwordx4 v[46:49], v39, off
	scratch_load_dwordx4 v[50:53], v38, off
	s_add_i32 s43, s43, 48
	s_waitcnt vmcnt(3)
	v_mov_b32_e32 v38, v42
	v_mov_b32_e32 v42, v43
	;; [unrolled: 1-line block ×3, first 2 shown]
	s_waitcnt vmcnt(1)
	v_mov_b32_e32 v43, v46
	v_mov_b32_e32 v46, v48
	;; [unrolled: 1-line block ×3, first 2 shown]
	s_waitcnt vmcnt(0)
	v_mov_b32_e32 v49, v52
	v_pk_add_f32 v[42:43], v[42:43], v[4:5] neg_lo:[0,1] neg_hi:[0,1]
	v_pk_add_f32 v[38:39], v[38:39], v[12:13] neg_lo:[0,1] neg_hi:[0,1]
	v_mov_b32_e32 v45, v47
	v_mov_b32_e32 v47, v51
	v_pk_add_f32 v[48:49], v[48:49], v[4:5] neg_lo:[0,1] neg_hi:[0,1]
	v_pk_mul_f32 v[42:43], v[42:43], v[42:43]
	v_mov_b32_e32 v51, v53
	v_pk_add_f32 v[44:45], v[44:45], v[6:7] neg_lo:[0,1] neg_hi:[0,1]
	v_pk_add_f32 v[46:47], v[46:47], v[12:13] neg_lo:[0,1] neg_hi:[0,1]
	v_pk_mul_f32 v[48:49], v[48:49], v[48:49]
	v_pk_fma_f32 v[38:39], v[38:39], v[38:39], v[42:43]
	v_pk_add_f32 v[50:51], v[50:51], v[6:7] neg_lo:[0,1] neg_hi:[0,1]
	v_pk_fma_f32 v[42:43], v[46:47], v[46:47], v[48:49]
	v_pk_fma_f32 v[38:39], v[44:45], v[44:45], v[38:39]
	;; [unrolled: 1-line block ×3, first 2 shown]
	v_mul_f32_e32 v41, 0x4f800000, v39
	v_cmp_gt_f32_e64 s[18:19], s47, v39
	v_mul_f32_e32 v44, 0x4f800000, v38
	v_cmp_gt_f32_e32 vcc, s47, v38
	v_mul_f32_e32 v45, 0x4f800000, v43
	v_cmp_gt_f32_e64 s[14:15], s47, v43
	v_cndmask_b32_e64 v39, v39, v41, s[18:19]
	v_mul_f32_e32 v46, 0x4f800000, v42
	v_cmp_gt_f32_e64 s[16:17], s47, v42
	v_cndmask_b32_e32 v38, v38, v44, vcc
	v_cndmask_b32_e64 v41, v43, v45, s[14:15]
	v_sqrt_f32_e32 v43, v39
	v_cndmask_b32_e64 v42, v42, v46, s[16:17]
	v_sqrt_f32_e32 v44, v38
	v_sqrt_f32_e32 v45, v41
	;; [unrolled: 1-line block ×3, first 2 shown]
	v_add_u32_e32 v47, -1, v43
	v_add_u32_e32 v49, -1, v44
	v_fma_f32 v55, -v47, v43, v39
	v_add_u32_e32 v48, 1, v43
	v_add_u32_e32 v50, 1, v44
	v_add_u32_e32 v51, -1, v45
	v_add_u32_e32 v53, -1, v46
	v_fma_f32 v57, -v49, v44, v38
	v_cmp_ge_f32_e64 s[20:21], 0, v55
	v_add_u32_e32 v52, 1, v45
	v_add_u32_e32 v54, 1, v46
	v_fma_f32 v56, -v48, v43, v39
	v_fma_f32 v58, -v50, v44, v38
	;; [unrolled: 1-line block ×4, first 2 shown]
	v_cndmask_b32_e64 v43, v43, v47, s[20:21]
	v_cmp_ge_f32_e64 s[20:21], 0, v57
	v_fma_f32 v60, -v52, v45, v41
	v_fma_f32 v62, -v54, v46, v42
	v_cndmask_b32_e64 v44, v44, v49, s[20:21]
	v_cmp_lt_f32_e64 s[20:21], 0, v58
	v_cmp_ge_f32_e64 s[22:23], 0, v59
	v_cmp_ge_f32_e64 s[24:25], 0, v61
	v_cmp_lt_f32_e64 s[26:27], 0, v56
	v_cndmask_b32_e64 v45, v45, v51, s[22:23]
	v_cmp_lt_f32_e64 s[22:23], 0, v60
	v_cndmask_b32_e64 v46, v46, v53, s[24:25]
	;; [unrolled: 2-line block ×3, first 2 shown]
	v_cndmask_b32_e64 v44, v44, v50, s[20:21]
	v_cndmask_b32_e64 v45, v45, v52, s[22:23]
	;; [unrolled: 1-line block ×3, first 2 shown]
	v_mul_f32_e32 v47, 0x37800000, v43
	v_mul_f32_e32 v48, 0x37800000, v44
	;; [unrolled: 1-line block ×4, first 2 shown]
	v_cndmask_b32_e64 v43, v43, v47, s[18:19]
	v_cndmask_b32_e32 v44, v44, v48, vcc
	v_cmp_class_f32_e32 vcc, v38, v29
	v_cmp_class_f32_e64 s[18:19], v39, v29
	v_cndmask_b32_e64 v45, v45, v49, s[14:15]
	v_cmp_class_f32_e64 s[14:15], v41, v29
	v_cndmask_b32_e64 v46, v46, v50, s[16:17]
	;; [unrolled: 2-line block ×3, first 2 shown]
	v_cndmask_b32_e32 v38, v44, v38, vcc
	v_cndmask_b32_e64 v43, v45, v41, s[14:15]
	v_cndmask_b32_e64 v42, v46, v42, s[16:17]
	v_pk_add_f32 v[44:45], v[38:39], v[16:17] neg_lo:[0,1] neg_hi:[0,1]
	v_pk_add_f32 v[46:47], v[42:43], v[16:17] neg_lo:[0,1] neg_hi:[0,1]
	v_cmp_lt_f32_e64 s[16:17], v45, v37
	v_cmp_gt_f32_e32 vcc, 0, v45
	v_cmp_gt_f32_e64 s[14:15], 0, v44
	v_cndmask_b32_e64 v53, 0, 1.0, s[16:17]
	v_cmp_lt_f32_e64 s[16:17], v44, v37
	v_cmp_gt_f32_e64 s[20:21], 0, v47
	v_cmp_gt_f32_e64 s[22:23], 0, v46
	v_cmp_lt_f32_e64 s[24:25], v47, v37
	v_pk_fma_f32 v[38:39], v[24:25], v[38:39], 1.0 op_sel_hi:[1,1,0] neg_lo:[1,0,0] neg_hi:[1,0,0]
	v_pk_fma_f32 v[42:43], v[24:25], v[42:43], 1.0 op_sel_hi:[1,1,0] neg_lo:[1,0,0] neg_hi:[1,0,0]
	v_cndmask_b32_e32 v49, 0, v33, vcc
	v_cndmask_b32_e64 v48, 0, v33, s[14:15]
	v_pk_fma_f32 v[50:51], v[18:19], v[44:45], 1.0 op_sel_hi:[1,1,0] neg_lo:[1,0,0] neg_hi:[1,0,0]
	v_cndmask_b32_e64 v52, 0, 1.0, s[16:17]
	v_pk_fma_f32 v[54:55], v[22:23], v[44:45], 1.0 op_sel_hi:[1,1,0] neg_lo:[1,0,0] neg_hi:[1,0,0]
	v_cmp_lt_f32_e64 s[16:17], v45, v36
	v_cmp_lt_f32_e64 s[18:19], v44, v36
	v_cndmask_b32_e64 v45, 0, v33, s[20:21]
	v_cndmask_b32_e64 v44, 0, v33, s[22:23]
	v_pk_fma_f32 v[56:57], v[18:19], v[46:47], 1.0 op_sel_hi:[1,1,0] neg_lo:[1,0,0] neg_hi:[1,0,0]
	v_cndmask_b32_e64 v59, 0, 1.0, s[24:25]
	v_cmp_lt_f32_e64 s[24:25], v46, v37
	v_pk_fma_f32 v[8:9], v[38:39], v[48:49], v[8:9]
	v_cndmask_b32_e64 v39, v51, 1.0, vcc
	v_cndmask_b32_e64 v58, 0, 1.0, s[24:25]
	v_cndmask_b32_e64 v38, v50, 1.0, s[14:15]
	v_pk_fma_f32 v[10:11], v[42:43], v[44:45], v[10:11]
	v_cndmask_b32_e64 v43, v57, 1.0, s[20:21]
	v_cndmask_b32_e64 v42, v56, 1.0, s[22:23]
	v_pk_mul_f32 v[38:39], v[52:53], v[38:39]
	v_pk_mul_f32 v[42:43], v[58:59], v[42:43]
	v_cmp_lt_f32_e64 s[24:25], v47, v36
	v_pk_mul_f32 v[38:39], v[14:15], v[38:39]
	v_pk_mul_f32 v[42:43], v[14:15], v[42:43]
	v_cmp_lt_f32_e64 s[26:27], v46, v36
	s_and_b64 s[16:17], s[10:11], s[16:17]
	v_cndmask_b32_e64 v49, v55, 1.0, vcc
	v_cndmask_b32_e64 v48, v54, 1.0, s[14:15]
	s_and_b64 s[14:15], s[10:11], s[24:25]
	v_and_b32_e32 v53, 0x7fffffff, v39
	v_and_b32_e32 v52, 0x7fffffff, v38
	;; [unrolled: 1-line block ×4, first 2 shown]
	v_pk_fma_f32 v[60:61], v[22:23], v[46:47], 1.0 op_sel_hi:[1,1,0] neg_lo:[1,0,0] neg_hi:[1,0,0]
	v_cndmask_b32_e64 v47, 0, 1.0, s[16:17]
	s_and_b64 s[16:17], s[10:11], s[18:19]
	v_cndmask_b32_e64 v45, 0, 1.0, s[14:15]
	s_and_b64 s[14:15], s[10:11], s[26:27]
	v_pk_add_f32 v[52:53], v[52:53], 0 neg_lo:[1,1] neg_hi:[1,1]
	v_pk_add_f32 v[54:55], v[54:55], 0 neg_lo:[1,1] neg_hi:[1,1]
	v_cndmask_b32_e64 v46, 0, 1.0, s[16:17]
	v_cndmask_b32_e64 v44, 0, 1.0, s[14:15]
	v_cndmask_b32_e64 v39, v39, v53, s[12:13]
	v_cndmask_b32_e64 v38, v38, v52, s[12:13]
	;; [unrolled: 1-line block ×4, first 2 shown]
	v_cndmask_b32_e64 v51, v61, 1.0, s[20:21]
	v_cndmask_b32_e64 v50, v60, 1.0, s[22:23]
	v_pk_mul_f32 v[46:47], v[20:21], v[46:47]
	v_pk_mul_f32 v[44:45], v[20:21], v[44:45]
	v_pk_fma_f32 v[8:9], v[38:39], s[40:41], v[8:9] op_sel_hi:[1,0,1]
	v_pk_fma_f32 v[10:11], v[42:43], s[40:41], v[10:11] op_sel_hi:[1,0,1]
	v_pk_fma_f32 v[8:9], v[48:49], v[46:47], v[8:9]
	v_pk_fma_f32 v[10:11], v[50:51], v[44:45], v[10:11]
	s_cmpk_lg_i32 s43, 0x600
	scratch_store_dwordx4 v35, v[8:11], off
	v_add_u32_e32 v35, 16, v35
	s_cbranch_scc1 .LBB7_31
; %bb.32:                               ;   in Loop: Header=BB7_30 Depth=2
	s_add_i32 s34, s34, 1
	s_cmp_lg_u32 s34, s41
	s_cbranch_scc1 .LBB7_30
; %bb.33:                               ;   in Loop: Header=BB7_27 Depth=1
	s_add_i32 s42, s42, 1
	s_cmp_lg_u32 s42, s44
	s_cbranch_scc1 .LBB7_27
; %bb.34:
	s_and_saveexec_b64 s[0:1], s[2:3]
	s_cbranch_execz .LBB7_36
; %bb.35:
	scratch_load_dwordx4 v[16:19], off, off offset:16
	scratch_load_dwordx4 v[24:27], off, off offset:32
	;; [unrolled: 1-line block ×10, first 2 shown]
	v_mov_b32_e32 v41, 0
	v_lshl_add_u64 v[42:43], v[40:41], 2, s[28:29]
	v_add_u32_e32 v40, s33, v40
	v_lshl_add_u64 v[44:45], v[40:41], 2, s[28:29]
	v_add_u32_e32 v40, s33, v40
	;; [unrolled: 2-line block ×4, first 2 shown]
	s_waitcnt vmcnt(9)
	v_mul_f32_e32 v50, 0.5, v16
	v_mul_f32_e32 v51, 0.5, v17
	v_lshl_add_u64 v[16:17], v[40:41], 2, s[28:29]
	v_add_u32_e32 v40, s33, v40
	v_mul_f32_e32 v52, 0.5, v18
	v_mul_f32_e32 v53, 0.5, v19
	v_lshl_add_u64 v[18:19], v[40:41], 2, s[28:29]
	v_add_u32_e32 v40, s33, v40
	s_waitcnt vmcnt(8)
	v_mul_f32_e32 v54, 0.5, v24
	v_mul_f32_e32 v55, 0.5, v25
	v_lshl_add_u64 v[24:25], v[40:41], 2, s[28:29]
	v_add_u32_e32 v40, s33, v40
	v_mul_f32_e32 v56, 0.5, v26
	v_mul_f32_e32 v57, 0.5, v27
	v_lshl_add_u64 v[26:27], v[40:41], 2, s[28:29]
	v_add_u32_e32 v40, s33, v40
	;; [unrolled: 9-line block ×3, first 2 shown]
	s_waitcnt vmcnt(6)
	v_mul_f32_e32 v62, 0.5, v36
	v_mul_f32_e32 v63, 0.5, v37
	v_lshl_add_u64 v[36:37], v[40:41], 2, s[28:29]
	v_add_u32_e32 v40, s33, v40
	global_store_dword v[42:43], v50, off
	global_store_dword v[44:45], v51, off
	;; [unrolled: 1-line block ×5, first 2 shown]
	v_lshl_add_u64 v[16:17], v[40:41], 2, s[28:29]
	v_add_u32_e32 v40, s33, v40
	v_mul_f32_e32 v64, 0.5, v38
	v_mul_f32_e32 v65, 0.5, v39
	v_lshl_add_u64 v[38:39], v[40:41], 2, s[28:29]
	v_add_u32_e32 v40, s33, v40
	global_store_dword v[18:19], v55, off
	v_lshl_add_u64 v[18:19], v[40:41], 2, s[28:29]
	v_add_u32_e32 v40, s33, v40
	global_store_dword v[24:25], v56, off
	v_lshl_add_u64 v[24:25], v[40:41], 2, s[28:29]
	v_add_u32_e32 v40, s33, v40
	v_lshl_add_u64 v[42:43], v[40:41], 2, s[28:29]
	v_add_u32_e32 v40, s33, v40
	global_store_dword v[26:27], v57, off
	v_lshl_add_u64 v[26:27], v[40:41], 2, s[28:29]
	v_add_u32_e32 v40, s33, v40
	global_store_dword v[32:33], v58, off
	v_lshl_add_u64 v[32:33], v[40:41], 2, s[28:29]
	v_add_u32_e32 v40, s33, v40
	s_waitcnt vmcnt(14)
	v_mul_f32_e32 v28, 0.5, v28
	v_mul_f32_e32 v29, 0.5, v29
	global_store_dword v[34:35], v59, off
	global_store_dword v[36:37], v60, off
	;; [unrolled: 1-line block ×9, first 2 shown]
	v_mul_f32_e32 v18, 0.5, v30
	v_lshl_add_u64 v[16:17], v[40:41], 2, s[28:29]
	v_add_u32_e32 v40, s33, v40
	global_store_dword v[16:17], v18, off
	v_mul_f32_e32 v18, 0.5, v31
	v_lshl_add_u64 v[16:17], v[40:41], 2, s[28:29]
	v_add_u32_e32 v40, s33, v40
	global_store_dword v[16:17], v18, off
	s_waitcnt vmcnt(24)
	v_mul_f32_e32 v18, 0.5, v20
	v_lshl_add_u64 v[16:17], v[40:41], 2, s[28:29]
	global_store_dword v[16:17], v18, off
	scratch_load_dwordx4 v[16:19], off, off offset:176
	v_add_u32_e32 v40, s33, v40
	v_mul_f32_e32 v24, 0.5, v21
	v_lshl_add_u64 v[20:21], v[40:41], 2, s[28:29]
	v_add_u32_e32 v40, s33, v40
	global_store_dword v[20:21], v24, off
	v_mul_f32_e32 v22, 0.5, v22
	v_lshl_add_u64 v[20:21], v[40:41], 2, s[28:29]
	v_add_u32_e32 v40, s33, v40
	global_store_dword v[20:21], v22, off
	;; [unrolled: 4-line block ×3, first 2 shown]
	s_waitcnt vmcnt(28)
	v_mul_f32_e32 v12, 0.5, v12
	v_lshl_add_u64 v[20:21], v[40:41], 2, s[28:29]
	v_add_u32_e32 v40, s33, v40
	global_store_dword v[20:21], v12, off
	scratch_load_dwordx4 v[20:23], off, off offset:192
	v_mul_f32_e32 v24, 0.5, v13
	v_lshl_add_u64 v[12:13], v[40:41], 2, s[28:29]
	v_add_u32_e32 v40, s33, v40
	global_store_dword v[12:13], v24, off
	v_mul_f32_e32 v14, 0.5, v14
	v_lshl_add_u64 v[12:13], v[40:41], 2, s[28:29]
	v_add_u32_e32 v40, s33, v40
	global_store_dword v[12:13], v14, off
	;; [unrolled: 4-line block ×3, first 2 shown]
	s_waitcnt vmcnt(32)
	v_mul_f32_e32 v8, 0.5, v8
	v_lshl_add_u64 v[12:13], v[40:41], 2, s[28:29]
	v_add_u32_e32 v40, s33, v40
	global_store_dword v[12:13], v8, off
	v_mul_f32_e32 v24, 0.5, v9
	scratch_load_dwordx4 v[12:15], off, off offset:208
	v_lshl_add_u64 v[8:9], v[40:41], 2, s[28:29]
	v_add_u32_e32 v40, s33, v40
	global_store_dword v[8:9], v24, off
	v_mul_f32_e32 v10, 0.5, v10
	v_lshl_add_u64 v[8:9], v[40:41], 2, s[28:29]
	v_add_u32_e32 v40, s33, v40
	global_store_dword v[8:9], v10, off
	v_mul_f32_e32 v10, 0.5, v11
	v_lshl_add_u64 v[8:9], v[40:41], 2, s[28:29]
	v_add_u32_e32 v40, s33, v40
	global_store_dword v[8:9], v10, off
	s_waitcnt vmcnt(36)
	v_mul_f32_e32 v4, 0.5, v4
	v_lshl_add_u64 v[8:9], v[40:41], 2, s[28:29]
	global_store_dword v[8:9], v4, off
	scratch_load_dwordx4 v[8:11], off, off offset:224
	v_add_u32_e32 v40, s33, v40
	v_mul_f32_e32 v24, 0.5, v5
	v_lshl_add_u64 v[4:5], v[40:41], 2, s[28:29]
	v_add_u32_e32 v40, s33, v40
	global_store_dword v[4:5], v24, off
	v_mul_f32_e32 v6, 0.5, v6
	v_lshl_add_u64 v[4:5], v[40:41], 2, s[28:29]
	v_add_u32_e32 v40, s33, v40
	global_store_dword v[4:5], v6, off
	;; [unrolled: 4-line block ×3, first 2 shown]
	s_waitcnt vmcnt(40)
	v_mul_f32_e32 v0, 0.5, v0
	v_lshl_add_u64 v[4:5], v[40:41], 2, s[28:29]
	v_add_u32_e32 v40, s33, v40
	global_store_dword v[4:5], v0, off
	v_mul_f32_e32 v24, 0.5, v1
	scratch_load_dwordx4 v[4:7], off, off offset:240
	v_lshl_add_u64 v[0:1], v[40:41], 2, s[28:29]
	v_add_u32_e32 v40, s33, v40
	global_store_dword v[0:1], v24, off
	v_mul_f32_e32 v2, 0.5, v2
	v_lshl_add_u64 v[0:1], v[40:41], 2, s[28:29]
	v_add_u32_e32 v40, s33, v40
	global_store_dword v[0:1], v2, off
	v_mul_f32_e32 v2, 0.5, v3
	v_lshl_add_u64 v[0:1], v[40:41], 2, s[28:29]
	v_add_u32_e32 v40, s33, v40
	global_store_dword v[0:1], v2, off
	s_waitcnt vmcnt(23)
	v_mul_f32_e32 v2, 0.5, v16
	v_lshl_add_u64 v[0:1], v[40:41], 2, s[28:29]
	global_store_dword v[0:1], v2, off
	scratch_load_dwordx4 v[0:3], off, off offset:256
	v_add_u32_e32 v40, s33, v40
	v_mul_f32_e32 v24, 0.5, v17
	v_lshl_add_u64 v[16:17], v[40:41], 2, s[28:29]
	v_add_u32_e32 v40, s33, v40
	global_store_dword v[16:17], v24, off
	v_mul_f32_e32 v18, 0.5, v18
	v_lshl_add_u64 v[16:17], v[40:41], 2, s[28:29]
	v_add_u32_e32 v40, s33, v40
	global_store_dword v[16:17], v18, off
	;; [unrolled: 4-line block ×3, first 2 shown]
	s_waitcnt vmcnt(23)
	v_mul_f32_e32 v18, 0.5, v20
	v_lshl_add_u64 v[16:17], v[40:41], 2, s[28:29]
	v_add_u32_e32 v40, s33, v40
	global_store_dword v[16:17], v18, off
	v_mul_f32_e32 v24, 0.5, v21
	scratch_load_dwordx4 v[16:19], off, off offset:272
	v_lshl_add_u64 v[20:21], v[40:41], 2, s[28:29]
	v_add_u32_e32 v40, s33, v40
	global_store_dword v[20:21], v24, off
	v_mul_f32_e32 v22, 0.5, v22
	v_lshl_add_u64 v[20:21], v[40:41], 2, s[28:29]
	v_add_u32_e32 v40, s33, v40
	global_store_dword v[20:21], v22, off
	v_mul_f32_e32 v22, 0.5, v23
	v_lshl_add_u64 v[20:21], v[40:41], 2, s[28:29]
	v_add_u32_e32 v40, s33, v40
	global_store_dword v[20:21], v22, off
	s_waitcnt vmcnt(23)
	v_mul_f32_e32 v12, 0.5, v12
	v_lshl_add_u64 v[20:21], v[40:41], 2, s[28:29]
	v_add_u32_e32 v40, s33, v40
	global_store_dword v[20:21], v12, off
	scratch_load_dwordx4 v[20:23], off, off offset:288
	v_mul_f32_e32 v24, 0.5, v13
	v_lshl_add_u64 v[12:13], v[40:41], 2, s[28:29]
	v_add_u32_e32 v40, s33, v40
	global_store_dword v[12:13], v24, off
	v_mul_f32_e32 v14, 0.5, v14
	v_lshl_add_u64 v[12:13], v[40:41], 2, s[28:29]
	v_add_u32_e32 v40, s33, v40
	global_store_dword v[12:13], v14, off
	;; [unrolled: 4-line block ×3, first 2 shown]
	s_waitcnt vmcnt(23)
	v_mul_f32_e32 v8, 0.5, v8
	v_lshl_add_u64 v[12:13], v[40:41], 2, s[28:29]
	global_store_dword v[12:13], v8, off
	scratch_load_dwordx4 v[12:15], off, off offset:304
	v_add_u32_e32 v40, s33, v40
	v_mul_f32_e32 v24, 0.5, v9
	v_lshl_add_u64 v[8:9], v[40:41], 2, s[28:29]
	v_add_u32_e32 v40, s33, v40
	global_store_dword v[8:9], v24, off
	v_mul_f32_e32 v10, 0.5, v10
	v_lshl_add_u64 v[8:9], v[40:41], 2, s[28:29]
	v_add_u32_e32 v40, s33, v40
	global_store_dword v[8:9], v10, off
	;; [unrolled: 4-line block ×3, first 2 shown]
	s_waitcnt vmcnt(23)
	v_mul_f32_e32 v4, 0.5, v4
	v_lshl_add_u64 v[8:9], v[40:41], 2, s[28:29]
	v_add_u32_e32 v40, s33, v40
	global_store_dword v[8:9], v4, off
	scratch_load_dwordx4 v[8:11], off, off offset:320
	v_mul_f32_e32 v24, 0.5, v5
	v_lshl_add_u64 v[4:5], v[40:41], 2, s[28:29]
	v_add_u32_e32 v40, s33, v40
	global_store_dword v[4:5], v24, off
	v_mul_f32_e32 v6, 0.5, v6
	v_lshl_add_u64 v[4:5], v[40:41], 2, s[28:29]
	v_add_u32_e32 v40, s33, v40
	global_store_dword v[4:5], v6, off
	;; [unrolled: 4-line block ×3, first 2 shown]
	s_waitcnt vmcnt(23)
	v_mul_f32_e32 v0, 0.5, v0
	v_lshl_add_u64 v[4:5], v[40:41], 2, s[28:29]
	global_store_dword v[4:5], v0, off
	scratch_load_dwordx4 v[4:7], off, off offset:336
	v_add_u32_e32 v40, s33, v40
	v_mul_f32_e32 v24, 0.5, v1
	v_lshl_add_u64 v[0:1], v[40:41], 2, s[28:29]
	v_add_u32_e32 v40, s33, v40
	global_store_dword v[0:1], v24, off
	v_mul_f32_e32 v2, 0.5, v2
	v_lshl_add_u64 v[0:1], v[40:41], 2, s[28:29]
	v_add_u32_e32 v40, s33, v40
	global_store_dword v[0:1], v2, off
	;; [unrolled: 4-line block ×3, first 2 shown]
	s_waitcnt vmcnt(23)
	v_mul_f32_e32 v2, 0.5, v16
	v_lshl_add_u64 v[0:1], v[40:41], 2, s[28:29]
	v_add_u32_e32 v40, s33, v40
	global_store_dword v[0:1], v2, off
	scratch_load_dwordx4 v[0:3], off, off offset:352
	v_mul_f32_e32 v24, 0.5, v17
	v_lshl_add_u64 v[16:17], v[40:41], 2, s[28:29]
	v_add_u32_e32 v40, s33, v40
	global_store_dword v[16:17], v24, off
	v_mul_f32_e32 v18, 0.5, v18
	v_lshl_add_u64 v[16:17], v[40:41], 2, s[28:29]
	v_add_u32_e32 v40, s33, v40
	global_store_dword v[16:17], v18, off
	;; [unrolled: 4-line block ×3, first 2 shown]
	s_waitcnt vmcnt(23)
	v_mul_f32_e32 v18, 0.5, v20
	v_lshl_add_u64 v[16:17], v[40:41], 2, s[28:29]
	v_add_u32_e32 v40, s33, v40
	global_store_dword v[16:17], v18, off
	v_mul_f32_e32 v24, 0.5, v21
	scratch_load_dwordx4 v[16:19], off, off offset:368
	v_lshl_add_u64 v[20:21], v[40:41], 2, s[28:29]
	v_add_u32_e32 v40, s33, v40
	global_store_dword v[20:21], v24, off
	v_mul_f32_e32 v22, 0.5, v22
	v_lshl_add_u64 v[20:21], v[40:41], 2, s[28:29]
	v_add_u32_e32 v40, s33, v40
	global_store_dword v[20:21], v22, off
	v_mul_f32_e32 v22, 0.5, v23
	v_lshl_add_u64 v[20:21], v[40:41], 2, s[28:29]
	v_add_u32_e32 v40, s33, v40
	global_store_dword v[20:21], v22, off
	s_waitcnt vmcnt(23)
	v_mul_f32_e32 v12, 0.5, v12
	v_lshl_add_u64 v[20:21], v[40:41], 2, s[28:29]
	global_store_dword v[20:21], v12, off
	scratch_load_dwordx4 v[20:23], off, off offset:384
	v_add_u32_e32 v40, s33, v40
	v_mul_f32_e32 v24, 0.5, v13
	v_lshl_add_u64 v[12:13], v[40:41], 2, s[28:29]
	v_add_u32_e32 v40, s33, v40
	global_store_dword v[12:13], v24, off
	v_mul_f32_e32 v14, 0.5, v14
	v_lshl_add_u64 v[12:13], v[40:41], 2, s[28:29]
	v_add_u32_e32 v40, s33, v40
	global_store_dword v[12:13], v14, off
	;; [unrolled: 4-line block ×3, first 2 shown]
	s_waitcnt vmcnt(23)
	v_mul_f32_e32 v8, 0.5, v8
	v_lshl_add_u64 v[12:13], v[40:41], 2, s[28:29]
	v_add_u32_e32 v40, s33, v40
	global_store_dword v[12:13], v8, off
	v_mul_f32_e32 v24, 0.5, v9
	scratch_load_dwordx4 v[12:15], off, off offset:400
	v_lshl_add_u64 v[8:9], v[40:41], 2, s[28:29]
	v_add_u32_e32 v40, s33, v40
	global_store_dword v[8:9], v24, off
	v_mul_f32_e32 v10, 0.5, v10
	v_lshl_add_u64 v[8:9], v[40:41], 2, s[28:29]
	v_add_u32_e32 v40, s33, v40
	global_store_dword v[8:9], v10, off
	v_mul_f32_e32 v10, 0.5, v11
	v_lshl_add_u64 v[8:9], v[40:41], 2, s[28:29]
	v_add_u32_e32 v40, s33, v40
	global_store_dword v[8:9], v10, off
	s_waitcnt vmcnt(23)
	v_mul_f32_e32 v4, 0.5, v4
	v_lshl_add_u64 v[8:9], v[40:41], 2, s[28:29]
	global_store_dword v[8:9], v4, off
	scratch_load_dwordx4 v[8:11], off, off offset:416
	v_add_u32_e32 v40, s33, v40
	v_mul_f32_e32 v24, 0.5, v5
	v_lshl_add_u64 v[4:5], v[40:41], 2, s[28:29]
	v_add_u32_e32 v40, s33, v40
	global_store_dword v[4:5], v24, off
	v_mul_f32_e32 v6, 0.5, v6
	v_lshl_add_u64 v[4:5], v[40:41], 2, s[28:29]
	v_add_u32_e32 v40, s33, v40
	global_store_dword v[4:5], v6, off
	;; [unrolled: 4-line block ×3, first 2 shown]
	s_waitcnt vmcnt(23)
	v_mul_f32_e32 v0, 0.5, v0
	v_lshl_add_u64 v[4:5], v[40:41], 2, s[28:29]
	v_add_u32_e32 v40, s33, v40
	global_store_dword v[4:5], v0, off
	v_mul_f32_e32 v24, 0.5, v1
	scratch_load_dwordx4 v[4:7], off, off offset:432
	v_lshl_add_u64 v[0:1], v[40:41], 2, s[28:29]
	v_add_u32_e32 v40, s33, v40
	global_store_dword v[0:1], v24, off
	v_mul_f32_e32 v2, 0.5, v2
	v_lshl_add_u64 v[0:1], v[40:41], 2, s[28:29]
	v_add_u32_e32 v40, s33, v40
	global_store_dword v[0:1], v2, off
	v_mul_f32_e32 v2, 0.5, v3
	v_lshl_add_u64 v[0:1], v[40:41], 2, s[28:29]
	v_add_u32_e32 v40, s33, v40
	global_store_dword v[0:1], v2, off
	s_waitcnt vmcnt(23)
	v_mul_f32_e32 v2, 0.5, v16
	v_lshl_add_u64 v[0:1], v[40:41], 2, s[28:29]
	v_add_u32_e32 v40, s33, v40
	global_store_dword v[0:1], v2, off
	scratch_load_dwordx4 v[0:3], off, off offset:448
	v_mul_f32_e32 v24, 0.5, v17
	v_lshl_add_u64 v[16:17], v[40:41], 2, s[28:29]
	v_add_u32_e32 v40, s33, v40
	global_store_dword v[16:17], v24, off
	v_mul_f32_e32 v18, 0.5, v18
	v_lshl_add_u64 v[16:17], v[40:41], 2, s[28:29]
	v_add_u32_e32 v40, s33, v40
	global_store_dword v[16:17], v18, off
	;; [unrolled: 4-line block ×3, first 2 shown]
	s_waitcnt vmcnt(23)
	v_mul_f32_e32 v18, 0.5, v20
	v_lshl_add_u64 v[16:17], v[40:41], 2, s[28:29]
	global_store_dword v[16:17], v18, off
	scratch_load_dwordx4 v[16:19], off, off offset:464
	v_add_u32_e32 v40, s33, v40
	v_mul_f32_e32 v24, 0.5, v21
	v_lshl_add_u64 v[20:21], v[40:41], 2, s[28:29]
	v_add_u32_e32 v40, s33, v40
	global_store_dword v[20:21], v24, off
	v_mul_f32_e32 v22, 0.5, v22
	v_lshl_add_u64 v[20:21], v[40:41], 2, s[28:29]
	v_add_u32_e32 v40, s33, v40
	global_store_dword v[20:21], v22, off
	;; [unrolled: 4-line block ×3, first 2 shown]
	scratch_load_dwordx4 v[20:23], off, off offset:480
	s_waitcnt vmcnt(24)
	v_mul_f32_e32 v12, 0.5, v12
	v_lshl_add_u64 v[24:25], v[40:41], 2, s[28:29]
	v_add_u32_e32 v40, s33, v40
	global_store_dword v[24:25], v12, off
	v_mul_f32_e32 v24, 0.5, v13
	v_lshl_add_u64 v[12:13], v[40:41], 2, s[28:29]
	v_add_u32_e32 v40, s33, v40
	global_store_dword v[12:13], v24, off
	;; [unrolled: 4-line block ×4, first 2 shown]
	s_waitcnt vmcnt(23)
	v_mul_f32_e32 v8, 0.5, v8
	scratch_load_dwordx4 v[12:15], off, off offset:496
	v_lshl_add_u64 v[24:25], v[40:41], 2, s[28:29]
	v_add_u32_e32 v40, s33, v40
	global_store_dword v[24:25], v8, off
	v_mul_f32_e32 v24, 0.5, v9
	v_lshl_add_u64 v[8:9], v[40:41], 2, s[28:29]
	v_add_u32_e32 v40, s33, v40
	global_store_dword v[8:9], v24, off
	v_mul_f32_e32 v10, 0.5, v10
	;; [unrolled: 4-line block ×3, first 2 shown]
	v_lshl_add_u64 v[8:9], v[40:41], 2, s[28:29]
	global_store_dword v[8:9], v10, off
	scratch_load_dwordx4 v[8:11], off, off offset:512
	v_add_u32_e32 v40, s33, v40
	s_waitcnt vmcnt(24)
	v_mul_f32_e32 v4, 0.5, v4
	v_lshl_add_u64 v[24:25], v[40:41], 2, s[28:29]
	v_add_u32_e32 v40, s33, v40
	global_store_dword v[24:25], v4, off
	v_mul_f32_e32 v24, 0.5, v5
	v_lshl_add_u64 v[4:5], v[40:41], 2, s[28:29]
	v_add_u32_e32 v40, s33, v40
	global_store_dword v[4:5], v24, off
	v_mul_f32_e32 v6, 0.5, v6
	v_lshl_add_u64 v[4:5], v[40:41], 2, s[28:29]
	v_add_u32_e32 v40, s33, v40
	global_store_dword v[4:5], v6, off
	v_mul_f32_e32 v6, 0.5, v7
	v_lshl_add_u64 v[4:5], v[40:41], 2, s[28:29]
	v_add_u32_e32 v40, s33, v40
	global_store_dword v[4:5], v6, off
	s_waitcnt vmcnt(23)
	v_mul_f32_e32 v0, 0.5, v0
	v_lshl_add_u64 v[4:5], v[40:41], 2, s[28:29]
	v_add_u32_e32 v40, s33, v40
	global_store_dword v[4:5], v0, off
	v_mul_f32_e32 v4, 0.5, v1
	v_lshl_add_u64 v[0:1], v[40:41], 2, s[28:29]
	v_add_u32_e32 v40, s33, v40
	global_store_dword v[0:1], v4, off
	v_mul_f32_e32 v2, 0.5, v2
	v_lshl_add_u64 v[0:1], v[40:41], 2, s[28:29]
	v_add_u32_e32 v40, s33, v40
	global_store_dword v[0:1], v2, off
	v_mul_f32_e32 v2, 0.5, v3
	v_lshl_add_u64 v[0:1], v[40:41], 2, s[28:29]
	v_add_u32_e32 v40, s33, v40
	global_store_dword v[0:1], v2, off
	;; [unrolled: 17-line block ×5, first 2 shown]
	s_waitcnt vmcnt(20)
	v_mul_f32_e32 v2, 0.5, v8
	v_lshl_add_u64 v[0:1], v[40:41], 2, s[28:29]
	v_add_u32_e32 v40, s33, v40
	global_store_dword v[0:1], v2, off
	v_mul_f32_e32 v2, 0.5, v9
	v_lshl_add_u64 v[0:1], v[40:41], 2, s[28:29]
	v_add_u32_e32 v40, s33, v40
	global_store_dword v[0:1], v2, off
	;; [unrolled: 4-line block ×3, first 2 shown]
	v_mul_f32_e32 v2, 0.5, v11
	v_lshl_add_u64 v[0:1], v[40:41], 2, s[28:29]
	global_store_dword v[0:1], v2, off
.LBB7_36:
	s_endpgm
	.section	.rodata,"a",@progbits
	.p2align	6, 0x0
	.amdhsa_kernel _ZL11fasten_mainILm128EEviiPK4AtomS2_PKfS4_S4_S4_S4_S4_PfPK8FFParamsi
		.amdhsa_group_segment_fixed_size 0
		.amdhsa_private_segment_fixed_size 8208
		.amdhsa_kernarg_size 352
		.amdhsa_user_sgpr_count 2
		.amdhsa_user_sgpr_dispatch_ptr 0
		.amdhsa_user_sgpr_queue_ptr 0
		.amdhsa_user_sgpr_kernarg_segment_ptr 1
		.amdhsa_user_sgpr_dispatch_id 0
		.amdhsa_user_sgpr_kernarg_preload_length 0
		.amdhsa_user_sgpr_kernarg_preload_offset 0
		.amdhsa_user_sgpr_private_segment_size 0
		.amdhsa_uses_dynamic_stack 0
		.amdhsa_enable_private_segment 1
		.amdhsa_system_sgpr_workgroup_id_x 1
		.amdhsa_system_sgpr_workgroup_id_y 0
		.amdhsa_system_sgpr_workgroup_id_z 0
		.amdhsa_system_sgpr_workgroup_info 0
		.amdhsa_system_vgpr_workitem_id 0
		.amdhsa_next_free_vgpr 66
		.amdhsa_next_free_sgpr 52
		.amdhsa_accum_offset 68
		.amdhsa_reserve_vcc 1
		.amdhsa_float_round_mode_32 0
		.amdhsa_float_round_mode_16_64 0
		.amdhsa_float_denorm_mode_32 3
		.amdhsa_float_denorm_mode_16_64 3
		.amdhsa_dx10_clamp 1
		.amdhsa_ieee_mode 1
		.amdhsa_fp16_overflow 0
		.amdhsa_tg_split 0
		.amdhsa_exception_fp_ieee_invalid_op 0
		.amdhsa_exception_fp_denorm_src 0
		.amdhsa_exception_fp_ieee_div_zero 0
		.amdhsa_exception_fp_ieee_overflow 0
		.amdhsa_exception_fp_ieee_underflow 0
		.amdhsa_exception_fp_ieee_inexact 0
		.amdhsa_exception_int_div_zero 0
	.end_amdhsa_kernel
	.section	.text._ZL11fasten_mainILm128EEviiPK4AtomS2_PKfS4_S4_S4_S4_S4_PfPK8FFParamsi,"axG",@progbits,_ZL11fasten_mainILm128EEviiPK4AtomS2_PKfS4_S4_S4_S4_S4_PfPK8FFParamsi,comdat
.Lfunc_end7:
	.size	_ZL11fasten_mainILm128EEviiPK4AtomS2_PKfS4_S4_S4_S4_S4_PfPK8FFParamsi, .Lfunc_end7-_ZL11fasten_mainILm128EEviiPK4AtomS2_PKfS4_S4_S4_S4_S4_PfPK8FFParamsi
                                        ; -- End function
	.section	.AMDGPU.csdata,"",@progbits
; Kernel info:
; codeLenInByte = 10632
; NumSgprs: 58
; NumVgprs: 66
; NumAgprs: 0
; TotalNumVgprs: 66
; ScratchSize: 8208
; MemoryBound: 0
; FloatMode: 240
; IeeeMode: 1
; LDSByteSize: 0 bytes/workgroup (compile time only)
; SGPRBlocks: 7
; VGPRBlocks: 8
; NumSGPRsForWavesPerEU: 58
; NumVGPRsForWavesPerEU: 66
; AccumOffset: 68
; Occupancy: 7
; WaveLimiterHint : 1
; COMPUTE_PGM_RSRC2:SCRATCH_EN: 1
; COMPUTE_PGM_RSRC2:USER_SGPR: 2
; COMPUTE_PGM_RSRC2:TRAP_HANDLER: 0
; COMPUTE_PGM_RSRC2:TGID_X_EN: 1
; COMPUTE_PGM_RSRC2:TGID_Y_EN: 0
; COMPUTE_PGM_RSRC2:TGID_Z_EN: 0
; COMPUTE_PGM_RSRC2:TIDIG_COMP_CNT: 0
; COMPUTE_PGM_RSRC3_GFX90A:ACCUM_OFFSET: 16
; COMPUTE_PGM_RSRC3_GFX90A:TG_SPLIT: 0
	.text
	.p2alignl 6, 3212836864
	.fill 256, 4, 3212836864
	.type	__hip_cuid_6c70d6a6284376a9,@object ; @__hip_cuid_6c70d6a6284376a9
	.section	.bss,"aw",@nobits
	.globl	__hip_cuid_6c70d6a6284376a9
__hip_cuid_6c70d6a6284376a9:
	.byte	0                               ; 0x0
	.size	__hip_cuid_6c70d6a6284376a9, 1

	.ident	"AMD clang version 19.0.0git (https://github.com/RadeonOpenCompute/llvm-project roc-6.4.0 25133 c7fe45cf4b819c5991fe208aaa96edf142730f1d)"
	.section	".note.GNU-stack","",@progbits
	.addrsig
	.addrsig_sym __hip_cuid_6c70d6a6284376a9
	.amdgpu_metadata
---
amdhsa.kernels:
  - .agpr_count:     0
    .args:
      - .offset:         0
        .size:           4
        .value_kind:     by_value
      - .offset:         4
        .size:           4
        .value_kind:     by_value
      - .address_space:  global
        .offset:         8
        .size:           8
        .value_kind:     global_buffer
      - .address_space:  global
        .offset:         16
        .size:           8
        .value_kind:     global_buffer
      - .address_space:  global
        .offset:         24
        .size:           8
        .value_kind:     global_buffer
      - .address_space:  global
        .offset:         32
        .size:           8
        .value_kind:     global_buffer
      - .address_space:  global
        .offset:         40
        .size:           8
        .value_kind:     global_buffer
      - .address_space:  global
        .offset:         48
        .size:           8
        .value_kind:     global_buffer
      - .address_space:  global
        .offset:         56
        .size:           8
        .value_kind:     global_buffer
      - .address_space:  global
        .offset:         64
        .size:           8
        .value_kind:     global_buffer
      - .address_space:  global
        .offset:         72
        .size:           8
        .value_kind:     global_buffer
      - .address_space:  global
        .offset:         80
        .size:           8
        .value_kind:     global_buffer
      - .offset:         88
        .size:           4
        .value_kind:     by_value
      - .offset:         96
        .size:           4
        .value_kind:     hidden_block_count_x
      - .offset:         100
        .size:           4
        .value_kind:     hidden_block_count_y
      - .offset:         104
        .size:           4
        .value_kind:     hidden_block_count_z
      - .offset:         108
        .size:           2
        .value_kind:     hidden_group_size_x
      - .offset:         110
        .size:           2
        .value_kind:     hidden_group_size_y
      - .offset:         112
        .size:           2
        .value_kind:     hidden_group_size_z
      - .offset:         114
        .size:           2
        .value_kind:     hidden_remainder_x
      - .offset:         116
        .size:           2
        .value_kind:     hidden_remainder_y
      - .offset:         118
        .size:           2
        .value_kind:     hidden_remainder_z
      - .offset:         136
        .size:           8
        .value_kind:     hidden_global_offset_x
      - .offset:         144
        .size:           8
        .value_kind:     hidden_global_offset_y
      - .offset:         152
        .size:           8
        .value_kind:     hidden_global_offset_z
      - .offset:         160
        .size:           2
        .value_kind:     hidden_grid_dims
    .group_segment_fixed_size: 0
    .kernarg_segment_align: 8
    .kernarg_segment_size: 352
    .language:       OpenCL C
    .language_version:
      - 2
      - 0
    .max_flat_workgroup_size: 1024
    .name:           _ZL11fasten_mainILm1EEviiPK4AtomS2_PKfS4_S4_S4_S4_S4_PfPK8FFParamsi
    .private_segment_fixed_size: 0
    .sgpr_count:     58
    .sgpr_spill_count: 0
    .symbol:         _ZL11fasten_mainILm1EEviiPK4AtomS2_PKfS4_S4_S4_S4_S4_PfPK8FFParamsi.kd
    .uniform_work_group_size: 1
    .uses_dynamic_stack: false
    .vgpr_count:     45
    .vgpr_spill_count: 0
    .wavefront_size: 64
  - .agpr_count:     0
    .args:
      - .offset:         0
        .size:           4
        .value_kind:     by_value
      - .offset:         4
        .size:           4
        .value_kind:     by_value
      - .address_space:  global
        .offset:         8
        .size:           8
        .value_kind:     global_buffer
      - .address_space:  global
        .offset:         16
        .size:           8
        .value_kind:     global_buffer
      - .address_space:  global
        .offset:         24
        .size:           8
        .value_kind:     global_buffer
      - .address_space:  global
        .offset:         32
        .size:           8
        .value_kind:     global_buffer
      - .address_space:  global
        .offset:         40
        .size:           8
        .value_kind:     global_buffer
      - .address_space:  global
        .offset:         48
        .size:           8
        .value_kind:     global_buffer
      - .address_space:  global
        .offset:         56
        .size:           8
        .value_kind:     global_buffer
      - .address_space:  global
        .offset:         64
        .size:           8
        .value_kind:     global_buffer
      - .address_space:  global
        .offset:         72
        .size:           8
        .value_kind:     global_buffer
      - .address_space:  global
        .offset:         80
        .size:           8
        .value_kind:     global_buffer
      - .offset:         88
        .size:           4
        .value_kind:     by_value
      - .offset:         96
        .size:           4
        .value_kind:     hidden_block_count_x
      - .offset:         100
        .size:           4
        .value_kind:     hidden_block_count_y
      - .offset:         104
        .size:           4
        .value_kind:     hidden_block_count_z
      - .offset:         108
        .size:           2
        .value_kind:     hidden_group_size_x
      - .offset:         110
        .size:           2
        .value_kind:     hidden_group_size_y
      - .offset:         112
        .size:           2
        .value_kind:     hidden_group_size_z
      - .offset:         114
        .size:           2
        .value_kind:     hidden_remainder_x
      - .offset:         116
        .size:           2
        .value_kind:     hidden_remainder_y
      - .offset:         118
        .size:           2
        .value_kind:     hidden_remainder_z
      - .offset:         136
        .size:           8
        .value_kind:     hidden_global_offset_x
      - .offset:         144
        .size:           8
        .value_kind:     hidden_global_offset_y
      - .offset:         152
        .size:           8
        .value_kind:     hidden_global_offset_z
      - .offset:         160
        .size:           2
        .value_kind:     hidden_grid_dims
    .group_segment_fixed_size: 0
    .kernarg_segment_align: 8
    .kernarg_segment_size: 352
    .language:       OpenCL C
    .language_version:
      - 2
      - 0
    .max_flat_workgroup_size: 1024
    .name:           _ZL11fasten_mainILm2EEviiPK4AtomS2_PKfS4_S4_S4_S4_S4_PfPK8FFParamsi
    .private_segment_fixed_size: 112
    .sgpr_count:     58
    .sgpr_spill_count: 0
    .symbol:         _ZL11fasten_mainILm2EEviiPK4AtomS2_PKfS4_S4_S4_S4_S4_PfPK8FFParamsi.kd
    .uniform_work_group_size: 1
    .uses_dynamic_stack: false
    .vgpr_count:     64
    .vgpr_spill_count: 0
    .wavefront_size: 64
  - .agpr_count:     0
    .args:
      - .offset:         0
        .size:           4
        .value_kind:     by_value
      - .offset:         4
        .size:           4
        .value_kind:     by_value
      - .address_space:  global
        .offset:         8
        .size:           8
        .value_kind:     global_buffer
      - .address_space:  global
        .offset:         16
        .size:           8
        .value_kind:     global_buffer
      - .address_space:  global
        .offset:         24
        .size:           8
        .value_kind:     global_buffer
      - .address_space:  global
        .offset:         32
        .size:           8
        .value_kind:     global_buffer
      - .address_space:  global
        .offset:         40
        .size:           8
        .value_kind:     global_buffer
      - .address_space:  global
        .offset:         48
        .size:           8
        .value_kind:     global_buffer
      - .address_space:  global
        .offset:         56
        .size:           8
        .value_kind:     global_buffer
      - .address_space:  global
        .offset:         64
        .size:           8
        .value_kind:     global_buffer
      - .address_space:  global
        .offset:         72
        .size:           8
        .value_kind:     global_buffer
      - .address_space:  global
        .offset:         80
        .size:           8
        .value_kind:     global_buffer
      - .offset:         88
        .size:           4
        .value_kind:     by_value
      - .offset:         96
        .size:           4
        .value_kind:     hidden_block_count_x
      - .offset:         100
        .size:           4
        .value_kind:     hidden_block_count_y
      - .offset:         104
        .size:           4
        .value_kind:     hidden_block_count_z
      - .offset:         108
        .size:           2
        .value_kind:     hidden_group_size_x
      - .offset:         110
        .size:           2
        .value_kind:     hidden_group_size_y
      - .offset:         112
        .size:           2
        .value_kind:     hidden_group_size_z
      - .offset:         114
        .size:           2
        .value_kind:     hidden_remainder_x
      - .offset:         116
        .size:           2
        .value_kind:     hidden_remainder_y
      - .offset:         118
        .size:           2
        .value_kind:     hidden_remainder_z
      - .offset:         136
        .size:           8
        .value_kind:     hidden_global_offset_x
      - .offset:         144
        .size:           8
        .value_kind:     hidden_global_offset_y
      - .offset:         152
        .size:           8
        .value_kind:     hidden_global_offset_z
      - .offset:         160
        .size:           2
        .value_kind:     hidden_grid_dims
    .group_segment_fixed_size: 0
    .kernarg_segment_align: 8
    .kernarg_segment_size: 352
    .language:       OpenCL C
    .language_version:
      - 2
      - 0
    .max_flat_workgroup_size: 1024
    .name:           _ZL11fasten_mainILm4EEviiPK4AtomS2_PKfS4_S4_S4_S4_S4_PfPK8FFParamsi
    .private_segment_fixed_size: 208
    .sgpr_count:     67
    .sgpr_spill_count: 0
    .symbol:         _ZL11fasten_mainILm4EEviiPK4AtomS2_PKfS4_S4_S4_S4_S4_PfPK8FFParamsi.kd
    .uniform_work_group_size: 1
    .uses_dynamic_stack: false
    .vgpr_count:     111
    .vgpr_spill_count: 0
    .wavefront_size: 64
  - .agpr_count:     0
    .args:
      - .offset:         0
        .size:           4
        .value_kind:     by_value
      - .offset:         4
        .size:           4
        .value_kind:     by_value
      - .address_space:  global
        .offset:         8
        .size:           8
        .value_kind:     global_buffer
      - .address_space:  global
        .offset:         16
        .size:           8
        .value_kind:     global_buffer
      - .address_space:  global
        .offset:         24
        .size:           8
        .value_kind:     global_buffer
      - .address_space:  global
        .offset:         32
        .size:           8
        .value_kind:     global_buffer
      - .address_space:  global
        .offset:         40
        .size:           8
        .value_kind:     global_buffer
      - .address_space:  global
        .offset:         48
        .size:           8
        .value_kind:     global_buffer
      - .address_space:  global
        .offset:         56
        .size:           8
        .value_kind:     global_buffer
      - .address_space:  global
        .offset:         64
        .size:           8
        .value_kind:     global_buffer
      - .address_space:  global
        .offset:         72
        .size:           8
        .value_kind:     global_buffer
      - .address_space:  global
        .offset:         80
        .size:           8
        .value_kind:     global_buffer
      - .offset:         88
        .size:           4
        .value_kind:     by_value
      - .offset:         96
        .size:           4
        .value_kind:     hidden_block_count_x
      - .offset:         100
        .size:           4
        .value_kind:     hidden_block_count_y
      - .offset:         104
        .size:           4
        .value_kind:     hidden_block_count_z
      - .offset:         108
        .size:           2
        .value_kind:     hidden_group_size_x
      - .offset:         110
        .size:           2
        .value_kind:     hidden_group_size_y
      - .offset:         112
        .size:           2
        .value_kind:     hidden_group_size_z
      - .offset:         114
        .size:           2
        .value_kind:     hidden_remainder_x
      - .offset:         116
        .size:           2
        .value_kind:     hidden_remainder_y
      - .offset:         118
        .size:           2
        .value_kind:     hidden_remainder_z
      - .offset:         136
        .size:           8
        .value_kind:     hidden_global_offset_x
      - .offset:         144
        .size:           8
        .value_kind:     hidden_global_offset_y
      - .offset:         152
        .size:           8
        .value_kind:     hidden_global_offset_z
      - .offset:         160
        .size:           2
        .value_kind:     hidden_grid_dims
    .group_segment_fixed_size: 0
    .kernarg_segment_align: 8
    .kernarg_segment_size: 352
    .language:       OpenCL C
    .language_version:
      - 2
      - 0
    .max_flat_workgroup_size: 1024
    .name:           _ZL11fasten_mainILm8EEviiPK4AtomS2_PKfS4_S4_S4_S4_S4_PfPK8FFParamsi
    .private_segment_fixed_size: 592
    .sgpr_count:     58
    .sgpr_spill_count: 0
    .symbol:         _ZL11fasten_mainILm8EEviiPK4AtomS2_PKfS4_S4_S4_S4_S4_PfPK8FFParamsi.kd
    .uniform_work_group_size: 1
    .uses_dynamic_stack: false
    .vgpr_count:     128
    .vgpr_spill_count: 50
    .wavefront_size: 64
  - .agpr_count:     0
    .args:
      - .offset:         0
        .size:           4
        .value_kind:     by_value
      - .offset:         4
        .size:           4
        .value_kind:     by_value
      - .address_space:  global
        .offset:         8
        .size:           8
        .value_kind:     global_buffer
      - .address_space:  global
        .offset:         16
        .size:           8
        .value_kind:     global_buffer
      - .address_space:  global
        .offset:         24
        .size:           8
        .value_kind:     global_buffer
      - .address_space:  global
        .offset:         32
        .size:           8
        .value_kind:     global_buffer
      - .address_space:  global
        .offset:         40
        .size:           8
        .value_kind:     global_buffer
      - .address_space:  global
        .offset:         48
        .size:           8
        .value_kind:     global_buffer
      - .address_space:  global
        .offset:         56
        .size:           8
        .value_kind:     global_buffer
      - .address_space:  global
        .offset:         64
        .size:           8
        .value_kind:     global_buffer
      - .address_space:  global
        .offset:         72
        .size:           8
        .value_kind:     global_buffer
      - .address_space:  global
        .offset:         80
        .size:           8
        .value_kind:     global_buffer
      - .offset:         88
        .size:           4
        .value_kind:     by_value
      - .offset:         96
        .size:           4
        .value_kind:     hidden_block_count_x
      - .offset:         100
        .size:           4
        .value_kind:     hidden_block_count_y
      - .offset:         104
        .size:           4
        .value_kind:     hidden_block_count_z
      - .offset:         108
        .size:           2
        .value_kind:     hidden_group_size_x
      - .offset:         110
        .size:           2
        .value_kind:     hidden_group_size_y
      - .offset:         112
        .size:           2
        .value_kind:     hidden_group_size_z
      - .offset:         114
        .size:           2
        .value_kind:     hidden_remainder_x
      - .offset:         116
        .size:           2
        .value_kind:     hidden_remainder_y
      - .offset:         118
        .size:           2
        .value_kind:     hidden_remainder_z
      - .offset:         136
        .size:           8
        .value_kind:     hidden_global_offset_x
      - .offset:         144
        .size:           8
        .value_kind:     hidden_global_offset_y
      - .offset:         152
        .size:           8
        .value_kind:     hidden_global_offset_z
      - .offset:         160
        .size:           2
        .value_kind:     hidden_grid_dims
    .group_segment_fixed_size: 0
    .kernarg_segment_align: 8
    .kernarg_segment_size: 352
    .language:       OpenCL C
    .language_version:
      - 2
      - 0
    .max_flat_workgroup_size: 1024
    .name:           _ZL11fasten_mainILm16EEviiPK4AtomS2_PKfS4_S4_S4_S4_S4_PfPK8FFParamsi
    .private_segment_fixed_size: 1712
    .sgpr_count:     58
    .sgpr_spill_count: 0
    .symbol:         _ZL11fasten_mainILm16EEviiPK4AtomS2_PKfS4_S4_S4_S4_S4_PfPK8FFParamsi.kd
    .uniform_work_group_size: 1
    .uses_dynamic_stack: false
    .vgpr_count:     128
    .vgpr_spill_count: 232
    .wavefront_size: 64
  - .agpr_count:     0
    .args:
      - .offset:         0
        .size:           4
        .value_kind:     by_value
      - .offset:         4
        .size:           4
        .value_kind:     by_value
      - .address_space:  global
        .offset:         8
        .size:           8
        .value_kind:     global_buffer
      - .address_space:  global
        .offset:         16
        .size:           8
        .value_kind:     global_buffer
      - .address_space:  global
        .offset:         24
        .size:           8
        .value_kind:     global_buffer
      - .address_space:  global
        .offset:         32
        .size:           8
        .value_kind:     global_buffer
      - .address_space:  global
        .offset:         40
        .size:           8
        .value_kind:     global_buffer
      - .address_space:  global
        .offset:         48
        .size:           8
        .value_kind:     global_buffer
      - .address_space:  global
        .offset:         56
        .size:           8
        .value_kind:     global_buffer
      - .address_space:  global
        .offset:         64
        .size:           8
        .value_kind:     global_buffer
      - .address_space:  global
        .offset:         72
        .size:           8
        .value_kind:     global_buffer
      - .address_space:  global
        .offset:         80
        .size:           8
        .value_kind:     global_buffer
      - .offset:         88
        .size:           4
        .value_kind:     by_value
      - .offset:         96
        .size:           4
        .value_kind:     hidden_block_count_x
      - .offset:         100
        .size:           4
        .value_kind:     hidden_block_count_y
      - .offset:         104
        .size:           4
        .value_kind:     hidden_block_count_z
      - .offset:         108
        .size:           2
        .value_kind:     hidden_group_size_x
      - .offset:         110
        .size:           2
        .value_kind:     hidden_group_size_y
      - .offset:         112
        .size:           2
        .value_kind:     hidden_group_size_z
      - .offset:         114
        .size:           2
        .value_kind:     hidden_remainder_x
      - .offset:         116
        .size:           2
        .value_kind:     hidden_remainder_y
      - .offset:         118
        .size:           2
        .value_kind:     hidden_remainder_z
      - .offset:         136
        .size:           8
        .value_kind:     hidden_global_offset_x
      - .offset:         144
        .size:           8
        .value_kind:     hidden_global_offset_y
      - .offset:         152
        .size:           8
        .value_kind:     hidden_global_offset_z
      - .offset:         160
        .size:           2
        .value_kind:     hidden_grid_dims
    .group_segment_fixed_size: 0
    .kernarg_segment_align: 8
    .kernarg_segment_size: 352
    .language:       OpenCL C
    .language_version:
      - 2
      - 0
    .max_flat_workgroup_size: 1024
    .name:           _ZL11fasten_mainILm32EEviiPK4AtomS2_PKfS4_S4_S4_S4_S4_PfPK8FFParamsi
    .private_segment_fixed_size: 3296
    .sgpr_count:     53
    .sgpr_spill_count: 0
    .symbol:         _ZL11fasten_mainILm32EEviiPK4AtomS2_PKfS4_S4_S4_S4_S4_PfPK8FFParamsi.kd
    .uniform_work_group_size: 1
    .uses_dynamic_stack: false
    .vgpr_count:     128
    .vgpr_spill_count: 412
    .wavefront_size: 64
  - .agpr_count:     0
    .args:
      - .offset:         0
        .size:           4
        .value_kind:     by_value
      - .offset:         4
        .size:           4
        .value_kind:     by_value
      - .address_space:  global
        .offset:         8
        .size:           8
        .value_kind:     global_buffer
      - .address_space:  global
        .offset:         16
        .size:           8
        .value_kind:     global_buffer
      - .address_space:  global
        .offset:         24
        .size:           8
        .value_kind:     global_buffer
      - .address_space:  global
        .offset:         32
        .size:           8
        .value_kind:     global_buffer
      - .address_space:  global
        .offset:         40
        .size:           8
        .value_kind:     global_buffer
      - .address_space:  global
        .offset:         48
        .size:           8
        .value_kind:     global_buffer
      - .address_space:  global
        .offset:         56
        .size:           8
        .value_kind:     global_buffer
      - .address_space:  global
        .offset:         64
        .size:           8
        .value_kind:     global_buffer
      - .address_space:  global
        .offset:         72
        .size:           8
        .value_kind:     global_buffer
      - .address_space:  global
        .offset:         80
        .size:           8
        .value_kind:     global_buffer
      - .offset:         88
        .size:           4
        .value_kind:     by_value
      - .offset:         96
        .size:           4
        .value_kind:     hidden_block_count_x
      - .offset:         100
        .size:           4
        .value_kind:     hidden_block_count_y
      - .offset:         104
        .size:           4
        .value_kind:     hidden_block_count_z
      - .offset:         108
        .size:           2
        .value_kind:     hidden_group_size_x
      - .offset:         110
        .size:           2
        .value_kind:     hidden_group_size_y
      - .offset:         112
        .size:           2
        .value_kind:     hidden_group_size_z
      - .offset:         114
        .size:           2
        .value_kind:     hidden_remainder_x
      - .offset:         116
        .size:           2
        .value_kind:     hidden_remainder_y
      - .offset:         118
        .size:           2
        .value_kind:     hidden_remainder_z
      - .offset:         136
        .size:           8
        .value_kind:     hidden_global_offset_x
      - .offset:         144
        .size:           8
        .value_kind:     hidden_global_offset_y
      - .offset:         152
        .size:           8
        .value_kind:     hidden_global_offset_z
      - .offset:         160
        .size:           2
        .value_kind:     hidden_grid_dims
    .group_segment_fixed_size: 0
    .kernarg_segment_align: 8
    .kernarg_segment_size: 352
    .language:       OpenCL C
    .language_version:
      - 2
      - 0
    .max_flat_workgroup_size: 1024
    .name:           _ZL11fasten_mainILm64EEviiPK4AtomS2_PKfS4_S4_S4_S4_S4_PfPK8FFParamsi
    .private_segment_fixed_size: 5600
    .sgpr_count:     53
    .sgpr_spill_count: 0
    .symbol:         _ZL11fasten_mainILm64EEviiPK4AtomS2_PKfS4_S4_S4_S4_S4_PfPK8FFParamsi.kd
    .uniform_work_group_size: 1
    .uses_dynamic_stack: false
    .vgpr_count:     128
    .vgpr_spill_count: 733
    .wavefront_size: 64
  - .agpr_count:     0
    .args:
      - .offset:         0
        .size:           4
        .value_kind:     by_value
      - .offset:         4
        .size:           4
        .value_kind:     by_value
      - .address_space:  global
        .offset:         8
        .size:           8
        .value_kind:     global_buffer
      - .address_space:  global
        .offset:         16
        .size:           8
        .value_kind:     global_buffer
      - .address_space:  global
        .offset:         24
        .size:           8
        .value_kind:     global_buffer
      - .address_space:  global
        .offset:         32
        .size:           8
        .value_kind:     global_buffer
      - .address_space:  global
        .offset:         40
        .size:           8
        .value_kind:     global_buffer
      - .address_space:  global
        .offset:         48
        .size:           8
        .value_kind:     global_buffer
      - .address_space:  global
        .offset:         56
        .size:           8
        .value_kind:     global_buffer
      - .address_space:  global
        .offset:         64
        .size:           8
        .value_kind:     global_buffer
      - .address_space:  global
        .offset:         72
        .size:           8
        .value_kind:     global_buffer
      - .address_space:  global
        .offset:         80
        .size:           8
        .value_kind:     global_buffer
      - .offset:         88
        .size:           4
        .value_kind:     by_value
      - .offset:         96
        .size:           4
        .value_kind:     hidden_block_count_x
      - .offset:         100
        .size:           4
        .value_kind:     hidden_block_count_y
      - .offset:         104
        .size:           4
        .value_kind:     hidden_block_count_z
      - .offset:         108
        .size:           2
        .value_kind:     hidden_group_size_x
      - .offset:         110
        .size:           2
        .value_kind:     hidden_group_size_y
      - .offset:         112
        .size:           2
        .value_kind:     hidden_group_size_z
      - .offset:         114
        .size:           2
        .value_kind:     hidden_remainder_x
      - .offset:         116
        .size:           2
        .value_kind:     hidden_remainder_y
      - .offset:         118
        .size:           2
        .value_kind:     hidden_remainder_z
      - .offset:         136
        .size:           8
        .value_kind:     hidden_global_offset_x
      - .offset:         144
        .size:           8
        .value_kind:     hidden_global_offset_y
      - .offset:         152
        .size:           8
        .value_kind:     hidden_global_offset_z
      - .offset:         160
        .size:           2
        .value_kind:     hidden_grid_dims
    .group_segment_fixed_size: 0
    .kernarg_segment_align: 8
    .kernarg_segment_size: 352
    .language:       OpenCL C
    .language_version:
      - 2
      - 0
    .max_flat_workgroup_size: 1024
    .name:           _ZL11fasten_mainILm128EEviiPK4AtomS2_PKfS4_S4_S4_S4_S4_PfPK8FFParamsi
    .private_segment_fixed_size: 8208
    .sgpr_count:     58
    .sgpr_spill_count: 0
    .symbol:         _ZL11fasten_mainILm128EEviiPK4AtomS2_PKfS4_S4_S4_S4_S4_PfPK8FFParamsi.kd
    .uniform_work_group_size: 1
    .uses_dynamic_stack: false
    .vgpr_count:     66
    .vgpr_spill_count: 0
    .wavefront_size: 64
amdhsa.target:   amdgcn-amd-amdhsa--gfx942
amdhsa.version:
  - 1
  - 2
...

	.end_amdgpu_metadata
